;; amdgpu-corpus repo=ROCm/rocFFT kind=compiled arch=gfx906 opt=O3
	.text
	.amdgcn_target "amdgcn-amd-amdhsa--gfx906"
	.amdhsa_code_object_version 6
	.protected	bluestein_single_back_len1248_dim1_dp_op_CI_CI ; -- Begin function bluestein_single_back_len1248_dim1_dp_op_CI_CI
	.globl	bluestein_single_back_len1248_dim1_dp_op_CI_CI
	.p2align	8
	.type	bluestein_single_back_len1248_dim1_dp_op_CI_CI,@function
bluestein_single_back_len1248_dim1_dp_op_CI_CI: ; @bluestein_single_back_len1248_dim1_dp_op_CI_CI
; %bb.0:
	s_load_dwordx4 s[16:19], s[4:5], 0x28
	s_mov_b64 s[54:55], s[2:3]
	v_mul_u32_u24_e32 v1, 0x4ed, v0
	s_mov_b64 s[52:53], s[0:1]
	v_add_u32_sdwa v4, s6, v1 dst_sel:DWORD dst_unused:UNUSED_PAD src0_sel:DWORD src1_sel:WORD_1
	v_mov_b32_e32 v5, 0
	s_add_u32 s52, s52, s7
	s_waitcnt lgkmcnt(0)
	v_cmp_gt_u64_e32 vcc, s[16:17], v[4:5]
	s_addc_u32 s53, s53, 0
	s_and_saveexec_b64 s[0:1], vcc
	s_cbranch_execz .LBB0_10
; %bb.1:
	s_load_dwordx4 s[8:11], s[4:5], 0x18
	v_mov_b32_e32 v2, 52
	v_mul_lo_u16_sdwa v1, v1, v2 dst_sel:DWORD dst_unused:UNUSED_PAD src0_sel:WORD_1 src1_sel:DWORD
	v_sub_u16_e32 v148, v0, v1
	v_mov_b32_e32 v5, v4
	s_waitcnt lgkmcnt(0)
	s_load_dwordx4 s[12:15], s[8:9], 0x0
	buffer_store_dword v5, off, s[52:55], 0 offset:168 ; 4-byte Folded Spill
	s_nop 0
	buffer_store_dword v6, off, s[52:55], 0 offset:172 ; 4-byte Folded Spill
	v_lshlrev_b32_e32 v216, 4, v148
	s_movk_i32 s8, 0x2000
	v_or_b32_e32 v47, 0x340, v148
	s_waitcnt lgkmcnt(0)
	v_mad_u64_u32 v[0:1], s[0:1], s14, v4, 0
	v_mad_u64_u32 v[2:3], s[0:1], s12, v148, 0
	s_mul_i32 s6, s13, 0x2700
	s_mul_hi_u32 s7, s12, 0x2700
	v_mad_u64_u32 v[4:5], s[0:1], s15, v4, v[1:2]
	s_add_i32 s6, s7, s6
	s_mul_i32 s7, s12, 0x2700
	v_mad_u64_u32 v[5:6], s[0:1], s13, v148, v[3:4]
	v_mov_b32_e32 v1, v4
	v_lshlrev_b64 v[0:1], 4, v[0:1]
	s_load_dwordx4 s[0:3], s[4:5], 0x0
	v_mov_b32_e32 v6, s19
	v_mov_b32_e32 v3, v5
	v_add_co_u32_e32 v7, vcc, s18, v0
	v_addc_co_u32_e32 v46, vcc, v6, v1, vcc
	v_lshlrev_b64 v[0:1], 4, v[2:3]
	s_waitcnt lgkmcnt(0)
	v_mov_b32_e32 v2, s1
	v_add_co_u32_e32 v0, vcc, v7, v0
	v_addc_co_u32_e32 v1, vcc, v46, v1, vcc
	v_add_co_u32_e32 v10, vcc, s0, v216
	v_addc_co_u32_e32 v11, vcc, 0, v2, vcc
	v_mov_b32_e32 v3, s6
	v_add_co_u32_e32 v2, vcc, s7, v0
	v_addc_co_u32_e32 v3, vcc, v1, v3, vcc
	s_mul_hi_u32 s9, s12, 0xffffdc40
	v_add_co_u32_e32 v8, vcc, s8, v10
	s_mul_i32 s8, s13, 0xffffdc40
	s_sub_i32 s14, s9, s12
	v_addc_co_u32_e32 v9, vcc, 0, v11, vcc
	s_add_i32 s14, s14, s8
	s_mul_i32 s15, s12, 0xffffdc40
	global_load_dwordx4 v[12:15], v[0:1], off
	global_load_dwordx4 v[16:19], v[2:3], off
	v_mov_b32_e32 v1, s14
	v_add_co_u32_e32 v0, vcc, s15, v2
	v_addc_co_u32_e32 v1, vcc, v3, v1, vcc
	global_load_dwordx4 v[112:115], v216, s[0:1]
	global_load_dwordx4 v[96:99], v216, s[0:1] offset:832
	v_mov_b32_e32 v3, s6
	v_add_co_u32_e32 v2, vcc, s7, v0
	v_addc_co_u32_e32 v3, vcc, v1, v3, vcc
	global_load_dwordx4 v[20:23], v[0:1], off
	global_load_dwordx4 v[24:27], v[2:3], off
	global_load_dwordx4 v[100:103], v[8:9], off offset:1792
	global_load_dwordx4 v[92:95], v[8:9], off offset:2624
	v_mov_b32_e32 v1, s14
	v_add_co_u32_e32 v0, vcc, s15, v2
	v_addc_co_u32_e32 v1, vcc, v3, v1, vcc
	global_load_dwordx4 v[28:31], v[0:1], off
	v_mov_b32_e32 v2, s6
	v_add_co_u32_e32 v0, vcc, s7, v0
	v_addc_co_u32_e32 v1, vcc, v1, v2, vcc
	v_mad_u64_u32 v[4:5], s[8:9], s12, v47, 0
	global_load_dwordx4 v[32:35], v[0:1], off
	global_load_dwordx4 v[70:73], v[8:9], off offset:3456
	v_mov_b32_e32 v2, s14
	v_add_co_u32_e32 v0, vcc, s15, v0
	v_addc_co_u32_e32 v1, vcc, v1, v2, vcc
	global_load_dwordx4 v[36:39], v[0:1], off
	global_load_dwordx4 v[104:107], v216, s[0:1] offset:1664
	global_load_dwordx4 v[74:77], v216, s[0:1] offset:2496
	v_mov_b32_e32 v2, s6
	v_add_co_u32_e32 v0, vcc, s7, v0
	v_addc_co_u32_e32 v1, vcc, v1, v2, vcc
	v_mov_b32_e32 v3, s14
	v_mov_b32_e32 v2, v5
	v_mad_u64_u32 v[5:6], s[8:9], s13, v47, v[2:3]
	s_movk_i32 s16, 0x3000
	v_add_co_u32_e32 v48, vcc, s16, v10
	v_addc_co_u32_e32 v49, vcc, 0, v11, vcc
	v_add_co_u32_e32 v44, vcc, s15, v0
	v_lshlrev_b64 v[4:5], 4, v[4:5]
	v_addc_co_u32_e32 v45, vcc, v1, v3, vcc
	v_add_co_u32_e32 v4, vcc, v7, v4
	v_addc_co_u32_e32 v5, vcc, v46, v5, vcc
	v_mov_b32_e32 v46, 0x340
	v_mad_u64_u32 v[50:51], s[8:9], s12, v46, v[44:45]
	s_mul_i32 s8, s13, 0x340
	global_load_dwordx4 v[40:43], v[0:1], off
	v_add_u32_e32 v51, s8, v51
	s_movk_i32 s8, 0x1000
	v_add_co_u32_e32 v52, vcc, s8, v10
	global_load_dwordx4 v[108:111], v[48:49], off offset:192
	global_load_dwordx4 v[0:3], v[44:45], off
	global_load_dwordx4 v[80:83], v216, s[0:1] offset:3328
	v_lshlrev_b32_e32 v44, 4, v47
	v_addc_co_u32_e32 v53, vcc, 0, v11, vcc
	global_load_dwordx4 v[4:7], v[4:5], off
	s_movk_i32 s12, 0x68
	buffer_store_dword v47, off, s[52:55], 0 offset:176 ; 4-byte Folded Spill
	buffer_store_dword v44, off, s[52:55], 0 offset:1156 ; 4-byte Folded Spill
	global_load_dwordx4 v[84:87], v44, s[0:1]
	global_load_dwordx4 v[88:91], v[52:53], off offset:64
	v_add_co_u32_e32 v145, vcc, s12, v148
	global_load_dwordx4 v[44:47], v[50:51], off
	s_movk_i32 s12, 0x9c
	v_add_co_u32_e32 v147, vcc, 52, v148
	v_add_co_u32_e32 v144, vcc, s12, v148
	s_movk_i32 s13, 0x4000
	s_waitcnt vmcnt(21)
	v_mul_f64 v[54:55], v[14:15], v[114:115]
	v_mul_f64 v[56:57], v[12:13], v[114:115]
	s_movk_i32 s12, 0xd0
	v_lshlrev_b32_e32 v146, 1, v148
	s_waitcnt vmcnt(19)
	v_mul_f64 v[62:63], v[22:23], v[98:99]
	v_mul_f64 v[64:65], v[20:21], v[98:99]
	s_waitcnt vmcnt(17)
	v_mul_f64 v[58:59], v[18:19], v[102:103]
	s_waitcnt vmcnt(16)
	v_mul_f64 v[66:67], v[26:27], v[94:95]
	v_fma_f64 v[12:13], v[12:13], v[112:113], v[54:55]
	buffer_store_dword v112, off, s[52:55], 0 offset:468 ; 4-byte Folded Spill
	s_nop 0
	buffer_store_dword v113, off, s[52:55], 0 offset:472 ; 4-byte Folded Spill
	buffer_store_dword v114, off, s[52:55], 0 offset:476 ; 4-byte Folded Spill
	;; [unrolled: 1-line block ×3, first 2 shown]
	v_mul_f64 v[60:61], v[16:17], v[102:103]
	v_mul_f64 v[68:69], v[24:25], v[94:95]
	v_fma_f64 v[20:21], v[20:21], v[96:97], v[62:63]
	s_load_dwordx2 s[4:5], s[4:5], 0x38
	v_fma_f64 v[16:17], v[16:17], v[100:101], v[58:59]
	buffer_store_dword v100, off, s[52:55], 0 offset:436 ; 4-byte Folded Spill
	s_nop 0
	buffer_store_dword v101, off, s[52:55], 0 offset:440 ; 4-byte Folded Spill
	buffer_store_dword v102, off, s[52:55], 0 offset:444 ; 4-byte Folded Spill
	;; [unrolled: 1-line block ×4, first 2 shown]
	s_nop 0
	buffer_store_dword v97, off, s[52:55], 0 offset:280 ; 4-byte Folded Spill
	buffer_store_dword v98, off, s[52:55], 0 offset:284 ; 4-byte Folded Spill
	;; [unrolled: 1-line block ×3, first 2 shown]
	v_fma_f64 v[24:25], v[24:25], v[92:93], v[66:67]
	buffer_store_dword v92, off, s[52:55], 0 offset:260 ; 4-byte Folded Spill
	s_nop 0
	buffer_store_dword v93, off, s[52:55], 0 offset:264 ; 4-byte Folded Spill
	buffer_store_dword v94, off, s[52:55], 0 offset:268 ; 4-byte Folded Spill
	;; [unrolled: 1-line block ×3, first 2 shown]
	s_load_dwordx4 s[8:11], s[10:11], 0x0
                                        ; implicit-def: $vgpr152_vgpr153
	s_waitcnt vmcnt(22)
	v_mul_f64 v[66:67], v[0:1], v[82:83]
	v_fma_f64 v[14:15], v[14:15], v[112:113], -v[56:57]
	v_mov_b32_e32 v56, s6
	v_fma_f64 v[18:19], v[18:19], v[100:101], -v[60:61]
	v_fma_f64 v[22:23], v[22:23], v[96:97], -v[64:65]
	ds_write_b128 v216, v[12:15]
	ds_write_b128 v216, v[16:19] offset:9984
	v_fma_f64 v[26:27], v[26:27], v[92:93], -v[68:69]
	v_mul_f64 v[12:13], v[30:31], v[106:107]
	ds_write_b128 v216, v[20:23] offset:832
	ds_write_b128 v216, v[24:27] offset:10816
	v_mul_f64 v[16:17], v[34:35], v[72:73]
	v_mul_f64 v[20:21], v[38:39], v[76:77]
	;; [unrolled: 1-line block ×4, first 2 shown]
	global_load_dwordx4 v[100:103], v[48:49], off offset:1856
	v_fma_f64 v[12:13], v[28:29], v[104:105], v[12:13]
	buffer_store_dword v104, off, s[52:55], 0 offset:340 ; 4-byte Folded Spill
	s_nop 0
	buffer_store_dword v105, off, s[52:55], 0 offset:344 ; 4-byte Folded Spill
	buffer_store_dword v106, off, s[52:55], 0 offset:348 ; 4-byte Folded Spill
	;; [unrolled: 1-line block ×3, first 2 shown]
	v_mul_f64 v[18:19], v[32:33], v[72:73]
	v_mul_f64 v[22:23], v[36:37], v[76:77]
	v_fma_f64 v[16:17], v[32:33], v[70:71], v[16:17]
	buffer_store_dword v70, off, s[52:55], 0 offset:180 ; 4-byte Folded Spill
	s_nop 0
	buffer_store_dword v71, off, s[52:55], 0 offset:184 ; 4-byte Folded Spill
	buffer_store_dword v72, off, s[52:55], 0 offset:188 ; 4-byte Folded Spill
	;; [unrolled: 1-line block ×3, first 2 shown]
	v_fma_f64 v[20:21], v[36:37], v[74:75], v[20:21]
	buffer_store_dword v74, off, s[52:55], 0 offset:212 ; 4-byte Folded Spill
	s_nop 0
	buffer_store_dword v75, off, s[52:55], 0 offset:216 ; 4-byte Folded Spill
	buffer_store_dword v76, off, s[52:55], 0 offset:220 ; 4-byte Folded Spill
	;; [unrolled: 1-line block ×3, first 2 shown]
	v_mul_f64 v[26:27], v[40:41], v[110:111]
	v_fma_f64 v[24:25], v[40:41], v[108:109], v[24:25]
	buffer_store_dword v108, off, s[52:55], 0 offset:452 ; 4-byte Folded Spill
	s_nop 0
	buffer_store_dword v109, off, s[52:55], 0 offset:456 ; 4-byte Folded Spill
	buffer_store_dword v110, off, s[52:55], 0 offset:460 ; 4-byte Folded Spill
	;; [unrolled: 1-line block ×3, first 2 shown]
	v_mul_f64 v[64:65], v[2:3], v[82:83]
	s_waitcnt vmcnt(35)
	v_mul_f64 v[68:69], v[6:7], v[86:87]
	s_waitcnt vmcnt(33)
	v_mul_f64 v[72:73], v[46:47], v[90:91]
	v_mov_b32_e32 v60, s14
	v_fma_f64 v[0:1], v[0:1], v[80:81], v[64:65]
	v_fma_f64 v[14:15], v[30:31], v[104:105], -v[14:15]
	v_mov_b32_e32 v30, s6
	v_fma_f64 v[18:19], v[34:35], v[70:71], -v[18:19]
	ds_write_b128 v216, v[12:15] offset:1664
	ds_write_b128 v216, v[16:19] offset:11648
	v_fma_f64 v[22:23], v[38:39], v[74:75], -v[22:23]
	v_fma_f64 v[26:27], v[42:43], v[108:109], -v[26:27]
	v_mov_b32_e32 v12, s6
	v_add_co_u32_e32 v16, vcc, s7, v50
	ds_write_b128 v216, v[20:23] offset:2496
	ds_write_b128 v216, v[24:27] offset:12480
	v_addc_co_u32_e32 v17, vcc, v51, v12, vcc
	global_load_dwordx4 v[12:15], v[16:17], off
	v_mov_b32_e32 v18, s14
	v_add_co_u32_e32 v20, vcc, s15, v16
	v_addc_co_u32_e32 v21, vcc, v17, v18, vcc
	v_mov_b32_e32 v22, s6
	v_add_co_u32_e32 v24, vcc, s7, v20
	v_addc_co_u32_e32 v25, vcc, v21, v22, vcc
	;; [unrolled: 3-line block ×3, first 2 shown]
	v_add_co_u32_e32 v32, vcc, s7, v28
	v_addc_co_u32_e32 v33, vcc, v29, v30, vcc
	v_mov_b32_e32 v34, s14
	v_add_co_u32_e32 v36, vcc, s15, v32
	v_addc_co_u32_e32 v37, vcc, v33, v34, vcc
	v_mov_b32_e32 v38, s6
	v_add_co_u32_e32 v40, vcc, s7, v36
	v_addc_co_u32_e32 v41, vcc, v37, v38, vcc
	v_add_co_u32_e32 v74, vcc, s13, v10
	v_addc_co_u32_e32 v75, vcc, 0, v11, vcc
	v_mov_b32_e32 v11, s14
	v_add_co_u32_e32 v10, vcc, s15, v40
	v_addc_co_u32_e32 v11, vcc, v41, v11, vcc
	global_load_dwordx4 v[16:19], v[20:21], off
	v_mul_f64 v[70:71], v[4:5], v[86:87]
	global_load_dwordx4 v[20:23], v[24:25], off
	s_nop 0
	global_load_dwordx4 v[24:27], v[28:29], off
	global_load_dwordx4 v[140:143], v[52:53], off offset:896
	global_load_dwordx4 v[116:119], v[52:53], off offset:1728
	s_nop 0
	global_load_dwordx4 v[28:31], v[32:33], off
	global_load_dwordx4 v[132:135], v[48:49], off offset:2688
	global_load_dwordx4 v[112:115], v[48:49], off offset:3520
	v_mov_b32_e32 v48, s6
	global_load_dwordx4 v[32:35], v[36:37], off
	v_fma_f64 v[4:5], v[4:5], v[84:85], v[68:69]
	global_load_dwordx4 v[36:39], v[40:41], off
	s_nop 0
	global_load_dwordx4 v[40:43], v[10:11], off
	global_load_dwordx4 v[136:139], v[52:53], off offset:2560
	global_load_dwordx4 v[108:111], v[52:53], off offset:3392
	v_add_co_u32_e32 v10, vcc, s7, v10
	v_addc_co_u32_e32 v11, vcc, v11, v48, vcc
	global_load_dwordx4 v[128:131], v[74:75], off offset:256
	global_load_dwordx4 v[48:51], v[10:11], off
	global_load_dwordx4 v[104:107], v[74:75], off offset:1088
	v_mov_b32_e32 v52, s14
	v_add_co_u32_e32 v10, vcc, s15, v10
	v_addc_co_u32_e32 v11, vcc, v11, v52, vcc
	global_load_dwordx4 v[52:55], v[10:11], off
	v_add_co_u32_e32 v10, vcc, s7, v10
	v_addc_co_u32_e32 v11, vcc, v11, v56, vcc
	global_load_dwordx4 v[56:59], v[10:11], off
	global_load_dwordx4 v[92:95], v[74:75], off offset:1920
	v_add_co_u32_e32 v10, vcc, s15, v10
	v_addc_co_u32_e32 v11, vcc, v11, v60, vcc
	global_load_dwordx4 v[60:63], v[10:11], off
	global_load_dwordx4 v[124:127], v[8:9], off offset:128
	global_load_dwordx4 v[96:99], v[8:9], off offset:960
	v_mov_b32_e32 v9, s6
	v_add_co_u32_e32 v8, vcc, s7, v10
	v_addc_co_u32_e32 v9, vcc, v11, v9, vcc
	global_load_dwordx4 v[8:11], v[8:9], off
	s_nop 0
	global_load_dwordx4 v[120:123], v[74:75], off offset:2752
	v_mul_f64 v[74:75], v[44:45], v[90:91]
	buffer_store_dword v80, off, s[52:55], 0 offset:196 ; 4-byte Folded Spill
	s_nop 0
	buffer_store_dword v81, off, s[52:55], 0 offset:200 ; 4-byte Folded Spill
	buffer_store_dword v82, off, s[52:55], 0 offset:204 ; 4-byte Folded Spill
	;; [unrolled: 1-line block ×4, first 2 shown]
	s_nop 0
	buffer_store_dword v85, off, s[52:55], 0 offset:232 ; 4-byte Folded Spill
	buffer_store_dword v86, off, s[52:55], 0 offset:236 ; 4-byte Folded Spill
	;; [unrolled: 1-line block ×3, first 2 shown]
	v_fma_f64 v[44:45], v[44:45], v[88:89], v[72:73]
	s_waitcnt vmcnt(32)
	v_mul_f64 v[76:77], v[14:15], v[102:103]
	buffer_store_dword v88, off, s[52:55], 0 offset:244 ; 4-byte Folded Spill
	s_nop 0
	buffer_store_dword v89, off, s[52:55], 0 offset:248 ; 4-byte Folded Spill
	buffer_store_dword v90, off, s[52:55], 0 offset:252 ; 4-byte Folded Spill
	;; [unrolled: 1-line block ×3, first 2 shown]
	v_mul_f64 v[78:79], v[12:13], v[102:103]
	s_movk_i32 s6, 0x104
	s_movk_i32 s7, 0x2fc
	v_fma_f64 v[12:13], v[12:13], v[100:101], v[76:77]
	buffer_store_dword v100, off, s[52:55], 0 offset:324 ; 4-byte Folded Spill
	s_nop 0
	buffer_store_dword v101, off, s[52:55], 0 offset:328 ; 4-byte Folded Spill
	buffer_store_dword v102, off, s[52:55], 0 offset:332 ; 4-byte Folded Spill
	;; [unrolled: 1-line block ×3, first 2 shown]
	v_add_co_u32_e32 v103, vcc, s12, v148
	v_add_co_u32_e32 v102, vcc, s6, v148
	s_movk_i32 s6, 0x138
	v_fma_f64 v[2:3], v[2:3], v[80:81], -v[66:67]
	v_fma_f64 v[6:7], v[6:7], v[84:85], -v[70:71]
	ds_write_b128 v216, v[0:3] offset:3328
	ds_write_b128 v216, v[4:7] offset:13312
	v_fma_f64 v[46:47], v[46:47], v[88:89], -v[74:75]
	s_waitcnt vmcnt(36)
	v_mul_f64 v[0:1], v[18:19], v[142:143]
	s_waitcnt vmcnt(33)
	v_mul_f64 v[4:5], v[22:23], v[134:135]
	v_fma_f64 v[14:15], v[14:15], v[100:101], -v[78:79]
	ds_write_b128 v216, v[44:47] offset:4160
	ds_write_b128 v216, v[12:15] offset:14144
	v_mul_f64 v[12:13], v[26:27], v[118:119]
	s_waitcnt vmcnt(32)
	v_mul_f64 v[44:45], v[30:31], v[114:115]
	v_mul_f64 v[2:3], v[16:17], v[142:143]
	;; [unrolled: 1-line block ×4, first 2 shown]
	v_fma_f64 v[0:1], v[16:17], v[140:141], v[0:1]
	buffer_store_dword v140, off, s[52:55], 0 offset:548 ; 4-byte Folded Spill
	s_nop 0
	buffer_store_dword v141, off, s[52:55], 0 offset:552 ; 4-byte Folded Spill
	buffer_store_dword v142, off, s[52:55], 0 offset:556 ; 4-byte Folded Spill
	buffer_store_dword v143, off, s[52:55], 0 offset:560 ; 4-byte Folded Spill
	v_fma_f64 v[4:5], v[20:21], v[132:133], v[4:5]
	buffer_store_dword v132, off, s[52:55], 0 offset:516 ; 4-byte Folded Spill
	s_nop 0
	buffer_store_dword v133, off, s[52:55], 0 offset:520 ; 4-byte Folded Spill
	buffer_store_dword v134, off, s[52:55], 0 offset:524 ; 4-byte Folded Spill
	buffer_store_dword v135, off, s[52:55], 0 offset:528 ; 4-byte Folded Spill
	;; [unrolled: 6-line block ×3, first 2 shown]
	v_mul_f64 v[46:47], v[28:29], v[114:115]
	v_fma_f64 v[16:17], v[28:29], v[112:113], v[44:45]
	buffer_store_dword v112, off, s[52:55], 0 offset:388 ; 4-byte Folded Spill
	s_nop 0
	buffer_store_dword v113, off, s[52:55], 0 offset:392 ; 4-byte Folded Spill
	buffer_store_dword v114, off, s[52:55], 0 offset:396 ; 4-byte Folded Spill
	;; [unrolled: 1-line block ×3, first 2 shown]
	v_add_co_u32_e32 v101, vcc, s6, v148
	s_movk_i32 s6, 0x16c
	v_add_co_u32_e32 v100, vcc, s6, v148
	s_movk_i32 s6, 0x1a0
	;; [unrolled: 2-line block ×3, first 2 shown]
	v_and_b32_e32 v134, 1, v148
	v_lshlrev_b32_e32 v135, 1, v147
	v_lshlrev_b32_e32 v142, 1, v202
	v_fma_f64 v[2:3], v[18:19], v[140:141], -v[2:3]
	v_lshlrev_b32_e32 v140, 1, v101
	v_fma_f64 v[6:7], v[22:23], v[132:133], -v[6:7]
	ds_write_b128 v216, v[0:3] offset:4992
	ds_write_b128 v216, v[4:7] offset:14976
	v_fma_f64 v[14:15], v[26:27], v[116:117], -v[14:15]
	v_fma_f64 v[18:19], v[30:31], v[112:113], -v[46:47]
	ds_write_b128 v216, v[12:15] offset:5824
	ds_write_b128 v216, v[16:19] offset:15808
	s_waitcnt vmcnt(44)
	v_mul_f64 v[0:1], v[34:35], v[138:139]
	s_waitcnt vmcnt(42)
	v_mul_f64 v[4:5], v[38:39], v[130:131]
	v_mul_f64 v[12:13], v[42:43], v[110:111]
	s_waitcnt vmcnt(40)
	v_mul_f64 v[16:17], v[50:51], v[106:107]
	v_mul_f64 v[2:3], v[32:33], v[138:139]
	;; [unrolled: 1-line block ×5, first 2 shown]
	v_fma_f64 v[0:1], v[32:33], v[136:137], v[0:1]
	buffer_store_dword v136, off, s[52:55], 0 offset:532 ; 4-byte Folded Spill
	s_nop 0
	buffer_store_dword v137, off, s[52:55], 0 offset:536 ; 4-byte Folded Spill
	buffer_store_dword v138, off, s[52:55], 0 offset:540 ; 4-byte Folded Spill
	buffer_store_dword v139, off, s[52:55], 0 offset:544 ; 4-byte Folded Spill
	v_fma_f64 v[4:5], v[36:37], v[128:129], v[4:5]
	buffer_store_dword v128, off, s[52:55], 0 offset:500 ; 4-byte Folded Spill
	s_nop 0
	buffer_store_dword v129, off, s[52:55], 0 offset:504 ; 4-byte Folded Spill
	buffer_store_dword v130, off, s[52:55], 0 offset:508 ; 4-byte Folded Spill
	buffer_store_dword v131, off, s[52:55], 0 offset:512 ; 4-byte Folded Spill
	;; [unrolled: 6-line block ×4, first 2 shown]
	v_lshlrev_b32_e32 v138, 1, v103
	v_lshlrev_b32_e32 v139, 1, v102
	;; [unrolled: 1-line block ×3, first 2 shown]
	v_fma_f64 v[2:3], v[34:35], v[136:137], -v[2:3]
	v_lshlrev_b32_e32 v136, 1, v145
	v_fma_f64 v[6:7], v[38:39], v[128:129], -v[6:7]
	ds_write_b128 v216, v[0:3] offset:6656
	ds_write_b128 v216, v[4:7] offset:16640
	v_fma_f64 v[14:15], v[42:43], v[108:109], -v[14:15]
	v_fma_f64 v[18:19], v[50:51], v[104:105], -v[18:19]
	ds_write_b128 v216, v[12:15] offset:7488
	ds_write_b128 v216, v[16:19] offset:17472
	s_waitcnt vmcnt(51)
	v_mul_f64 v[0:1], v[54:55], v[126:127]
	v_mul_f64 v[4:5], v[58:59], v[94:95]
	s_waitcnt vmcnt(50)
	v_mul_f64 v[12:13], v[62:63], v[98:99]
	s_waitcnt vmcnt(48)
	v_mul_f64 v[16:17], v[10:11], v[122:123]
	v_mul_f64 v[2:3], v[52:53], v[126:127]
	;; [unrolled: 1-line block ×5, first 2 shown]
	v_fma_f64 v[0:1], v[52:53], v[124:125], v[0:1]
	buffer_store_dword v124, off, s[52:55], 0 offset:484 ; 4-byte Folded Spill
	s_nop 0
	buffer_store_dword v125, off, s[52:55], 0 offset:488 ; 4-byte Folded Spill
	buffer_store_dword v126, off, s[52:55], 0 offset:492 ; 4-byte Folded Spill
	buffer_store_dword v127, off, s[52:55], 0 offset:496 ; 4-byte Folded Spill
	v_fma_f64 v[4:5], v[56:57], v[92:93], v[4:5]
	buffer_store_dword v92, off, s[52:55], 0 offset:292 ; 4-byte Folded Spill
	s_nop 0
	buffer_store_dword v93, off, s[52:55], 0 offset:296 ; 4-byte Folded Spill
	buffer_store_dword v94, off, s[52:55], 0 offset:300 ; 4-byte Folded Spill
	buffer_store_dword v95, off, s[52:55], 0 offset:304 ; 4-byte Folded Spill
	;; [unrolled: 6-line block ×4, first 2 shown]
	v_add_co_u32_e32 v104, vcc, s6, v148
	s_movk_i32 s6, 0x208
	v_add_co_u32_e32 v98, vcc, s6, v148
	s_movk_i32 s6, 0x23c
	v_lshlrev_b32_e32 v143, 1, v104
	v_lshlrev_b32_e32 v137, 1, v144
	v_fma_f64 v[2:3], v[54:55], v[124:125], -v[2:3]
	v_fma_f64 v[6:7], v[58:59], v[92:93], -v[6:7]
	ds_write_b128 v216, v[0:3] offset:8320
	ds_write_b128 v216, v[4:7] offset:18304
	v_fma_f64 v[14:15], v[62:63], v[96:97], -v[14:15]
	v_fma_f64 v[10:11], v[10:11], v[120:121], -v[18:19]
	ds_write_b128 v216, v[12:15] offset:9152
	ds_write_b128 v216, v[8:11] offset:19136
	s_waitcnt lgkmcnt(0)
	; wave barrier
	s_waitcnt lgkmcnt(0)
	ds_read_b128 v[0:3], v216
	ds_read_b128 v[4:7], v216 offset:832
	ds_read_b128 v[8:11], v216 offset:9984
	;; [unrolled: 1-line block ×23, first 2 shown]
	s_waitcnt lgkmcnt(14)
	v_add_f64 v[8:9], v[0:1], -v[8:9]
	v_add_f64 v[10:11], v[2:3], -v[10:11]
	;; [unrolled: 1-line block ×8, first 2 shown]
	s_waitcnt lgkmcnt(13)
	v_add_f64 v[40:41], v[32:33], -v[40:41]
	v_add_f64 v[42:43], v[34:35], -v[42:43]
	s_waitcnt lgkmcnt(12)
	v_add_f64 v[44:45], v[36:37], -v[44:45]
	v_add_f64 v[46:47], v[38:39], -v[46:47]
	;; [unrolled: 3-line block ×4, first 2 shown]
	v_fma_f64 v[0:1], v[0:1], 2.0, -v[8:9]
	v_fma_f64 v[2:3], v[2:3], 2.0, -v[10:11]
	s_waitcnt lgkmcnt(5)
	v_add_f64 v[72:73], v[64:65], -v[72:73]
	v_add_f64 v[74:75], v[66:67], -v[74:75]
	v_fma_f64 v[4:5], v[4:5], 2.0, -v[12:13]
	v_fma_f64 v[6:7], v[6:7], 2.0, -v[14:15]
	s_waitcnt lgkmcnt(4)
	v_add_f64 v[76:77], v[68:69], -v[76:77]
	v_add_f64 v[78:79], v[70:71], -v[78:79]
	v_fma_f64 v[16:17], v[16:17], 2.0, -v[24:25]
	v_fma_f64 v[18:19], v[18:19], 2.0, -v[26:27]
	s_waitcnt lgkmcnt(1)
	v_add_f64 v[88:89], v[80:81], -v[88:89]
	v_add_f64 v[90:91], v[82:83], -v[90:91]
	v_fma_f64 v[20:21], v[20:21], 2.0, -v[28:29]
	v_fma_f64 v[22:23], v[22:23], 2.0, -v[30:31]
	s_waitcnt lgkmcnt(0)
	v_add_f64 v[92:93], v[84:85], -v[92:93]
	v_add_f64 v[94:95], v[86:87], -v[94:95]
	v_fma_f64 v[32:33], v[32:33], 2.0, -v[40:41]
	v_fma_f64 v[34:35], v[34:35], 2.0, -v[42:43]
	;; [unrolled: 1-line block ×8, first 2 shown]
	v_lshlrev_b32_e32 v96, 5, v148
	v_fma_f64 v[64:65], v[64:65], 2.0, -v[72:73]
	v_fma_f64 v[66:67], v[66:67], 2.0, -v[74:75]
	s_waitcnt lgkmcnt(0)
	; wave barrier
	ds_write_b128 v96, v[0:3]
	v_lshlrev_b32_e32 v0, 5, v147
	v_fma_f64 v[68:69], v[68:69], 2.0, -v[76:77]
	v_fma_f64 v[70:71], v[70:71], 2.0, -v[78:79]
	ds_write_b128 v96, v[8:11] offset:16
	ds_write_b128 v0, v[4:7]
	buffer_store_dword v0, off, s[52:55], 0 offset:1148 ; 4-byte Folded Spill
	ds_write_b128 v0, v[12:15] offset:16
	v_lshlrev_b32_e32 v0, 5, v145
	v_fma_f64 v[80:81], v[80:81], 2.0, -v[88:89]
	v_fma_f64 v[82:83], v[82:83], 2.0, -v[90:91]
	ds_write_b128 v0, v[16:19]
	buffer_store_dword v0, off, s[52:55], 0 offset:1144 ; 4-byte Folded Spill
	ds_write_b128 v0, v[24:27] offset:16
	v_lshlrev_b32_e32 v0, 5, v144
	v_fma_f64 v[84:85], v[84:85], 2.0, -v[92:93]
	v_fma_f64 v[86:87], v[86:87], 2.0, -v[94:95]
	ds_write_b128 v0, v[20:23]
	buffer_store_dword v0, off, s[52:55], 0 offset:1140 ; 4-byte Folded Spill
	ds_write_b128 v0, v[28:31] offset:16
	v_lshlrev_b32_e32 v0, 5, v103
	ds_write_b128 v0, v[32:35]
	buffer_store_dword v0, off, s[52:55], 0 offset:1136 ; 4-byte Folded Spill
	ds_write_b128 v0, v[40:43] offset:16
	v_lshlrev_b32_e32 v0, 5, v102
	;; [unrolled: 4-line block ×6, first 2 shown]
	v_add_co_u32_e32 v97, vcc, s6, v148
	ds_write_b128 v0, v[68:71]
	buffer_store_dword v0, off, s[52:55], 0 offset:1116 ; 4-byte Folded Spill
	ds_write_b128 v0, v[76:79] offset:16
	v_lshlrev_b32_e32 v0, 5, v98
	ds_write_b128 v0, v[80:83]
	buffer_store_dword v0, off, s[52:55], 0 offset:1120 ; 4-byte Folded Spill
	ds_write_b128 v0, v[88:91] offset:16
	v_lshlrev_b32_e32 v0, 5, v97
	;; [unrolled: 4-line block ×3, first 2 shown]
	buffer_store_dword v96, off, s[52:55], 0 offset:1152 ; 4-byte Folded Spill
	s_waitcnt lgkmcnt(0)
	; wave barrier
	s_waitcnt lgkmcnt(0)
	global_load_dwordx4 v[60:63], v0, s[2:3]
	s_movk_i32 s6, 0x7c
	buffer_store_dword v147, off, s[52:55], 0 offset:564 ; 4-byte Folded Spill
	buffer_store_dword v145, off, s[52:55], 0 offset:572 ; 4-byte Folded Spill
	;; [unrolled: 1-line block ×10, first 2 shown]
	ds_read_b128 v[0:3], v216
	ds_read_b128 v[4:7], v216 offset:832
	ds_read_b128 v[8:11], v216 offset:9984
	;; [unrolled: 1-line block ×15, first 2 shown]
	v_lshlrev_b32_e32 v145, 1, v97
	ds_read_b128 v[68:71], v216 offset:6656
	ds_read_b128 v[72:75], v216 offset:7488
	;; [unrolled: 1-line block ×6, first 2 shown]
	v_lshlrev_b32_e32 v144, 1, v98
	v_cmp_gt_u16_e32 vcc, 44, v148
	s_waitcnt vmcnt(10) lgkmcnt(14)
	v_mul_f64 v[92:93], v[10:11], v[62:63]
	v_mul_f64 v[94:95], v[8:9], v[62:63]
	s_waitcnt lgkmcnt(11)
	v_mul_f64 v[104:105], v[42:43], v[62:63]
	v_mul_f64 v[100:101], v[30:31], v[62:63]
	;; [unrolled: 1-line block ×5, first 2 shown]
	v_fma_f64 v[8:9], v[8:9], v[60:61], -v[92:93]
	v_mul_f64 v[92:93], v[14:15], v[62:63]
	v_fma_f64 v[10:11], v[10:11], v[60:61], v[94:95]
	v_mul_f64 v[94:95], v[26:27], v[62:63]
	v_fma_f64 v[28:29], v[28:29], v[60:61], -v[100:101]
	v_fma_f64 v[30:31], v[30:31], v[60:61], v[102:103]
	s_waitcnt lgkmcnt(6)
	v_mul_f64 v[100:101], v[66:67], v[62:63]
	v_mul_f64 v[102:103], v[64:65], v[62:63]
	v_fma_f64 v[14:15], v[14:15], v[60:61], v[96:97]
	v_fma_f64 v[12:13], v[12:13], v[60:61], -v[92:93]
	v_mul_f64 v[92:93], v[40:41], v[62:63]
	v_fma_f64 v[24:25], v[24:25], v[60:61], -v[94:95]
	v_fma_f64 v[40:41], v[40:41], v[60:61], -v[104:105]
	v_mul_f64 v[94:95], v[46:47], v[62:63]
	s_waitcnt lgkmcnt(3)
	v_mul_f64 v[104:105], v[78:79], v[62:63]
	v_mul_f64 v[96:97], v[44:45], v[62:63]
	v_fma_f64 v[26:27], v[26:27], v[60:61], v[98:99]
	v_mul_f64 v[98:99], v[56:57], v[62:63]
	v_fma_f64 v[42:43], v[42:43], v[60:61], v[92:93]
	v_mul_f64 v[92:93], v[58:59], v[62:63]
	v_fma_f64 v[114:115], v[64:65], v[60:61], -v[100:101]
	v_fma_f64 v[106:107], v[44:45], v[60:61], -v[94:95]
	v_mul_f64 v[44:45], v[76:77], v[62:63]
	v_fma_f64 v[118:119], v[76:77], v[60:61], -v[104:105]
	s_waitcnt lgkmcnt(0)
	v_mul_f64 v[76:77], v[88:89], v[62:63]
	v_fma_f64 v[116:117], v[66:67], v[60:61], v[102:103]
	v_mul_f64 v[64:65], v[84:85], v[62:63]
	v_mul_f64 v[66:67], v[90:91], v[62:63]
	v_fma_f64 v[108:109], v[46:47], v[60:61], v[96:97]
	v_fma_f64 v[110:111], v[56:57], v[60:61], -v[92:93]
	v_mul_f64 v[46:47], v[82:83], v[62:63]
	v_mul_f64 v[56:57], v[80:81], v[62:63]
	v_fma_f64 v[112:113], v[58:59], v[60:61], v[98:99]
	v_mul_f64 v[58:59], v[86:87], v[62:63]
	v_fma_f64 v[132:133], v[90:91], v[60:61], v[76:77]
	v_add_f64 v[76:77], v[4:5], -v[12:13]
	v_fma_f64 v[128:129], v[86:87], v[60:61], v[64:65]
	v_fma_f64 v[130:131], v[88:89], v[60:61], -v[66:67]
	v_add_f64 v[64:65], v[0:1], -v[8:9]
	v_add_f64 v[66:67], v[2:3], -v[10:11]
	v_fma_f64 v[120:121], v[78:79], v[60:61], v[44:45]
	v_add_f64 v[78:79], v[6:7], -v[14:15]
	v_fma_f64 v[122:123], v[80:81], v[60:61], -v[46:47]
	v_fma_f64 v[124:125], v[82:83], v[60:61], v[56:57]
	v_add_f64 v[80:81], v[16:17], -v[24:25]
	v_add_f64 v[82:83], v[18:19], -v[26:27]
	v_fma_f64 v[126:127], v[84:85], v[60:61], -v[58:59]
	v_add_f64 v[84:85], v[20:21], -v[28:29]
	v_add_f64 v[86:87], v[22:23], -v[30:31]
	v_fma_f64 v[92:93], v[4:5], 2.0, -v[76:77]
	v_add_f64 v[4:5], v[52:53], -v[114:115]
	v_fma_f64 v[88:89], v[0:1], 2.0, -v[64:65]
	v_fma_f64 v[90:91], v[2:3], 2.0, -v[66:67]
	v_add_f64 v[100:101], v[32:33], -v[40:41]
	v_add_f64 v[102:103], v[34:35], -v[42:43]
	v_fma_f64 v[94:95], v[6:7], 2.0, -v[78:79]
	v_add_f64 v[104:105], v[36:37], -v[106:107]
	v_add_f64 v[106:107], v[38:39], -v[108:109]
	v_fma_f64 v[16:17], v[16:17], 2.0, -v[80:81]
	v_fma_f64 v[18:19], v[18:19], 2.0, -v[82:83]
	v_add_f64 v[0:1], v[48:49], -v[110:111]
	v_add_f64 v[2:3], v[50:51], -v[112:113]
	v_fma_f64 v[96:97], v[20:21], 2.0, -v[84:85]
	v_fma_f64 v[98:99], v[22:23], 2.0, -v[86:87]
	v_add_f64 v[6:7], v[54:55], -v[116:117]
	v_fma_f64 v[8:9], v[52:53], 2.0, -v[4:5]
	v_and_or_b32 v52, v146, s6, v134
	ds_read_b128 v[44:47], v216 offset:8320
	ds_read_b128 v[56:59], v216 offset:9152
	v_lshlrev_b32_e32 v52, 4, v52
	s_movk_i32 s6, 0xfc
	v_fma_f64 v[108:109], v[32:33], 2.0, -v[100:101]
	v_fma_f64 v[110:111], v[34:35], 2.0, -v[102:103]
	v_add_f64 v[12:13], v[68:69], -v[118:119]
	v_add_f64 v[14:15], v[70:71], -v[120:121]
	s_waitcnt lgkmcnt(0)
	; wave barrier
	s_waitcnt lgkmcnt(0)
	ds_write_b128 v52, v[88:91]
	buffer_store_dword v52, off, s[52:55], 0 offset:1104 ; 4-byte Folded Spill
	ds_write_b128 v52, v[64:67] offset:32
	v_and_or_b32 v52, v135, s6, v134
	v_lshlrev_b32_e32 v52, 4, v52
	s_movk_i32 s6, 0x1fc
	v_fma_f64 v[112:113], v[36:37], 2.0, -v[104:105]
	v_fma_f64 v[114:115], v[38:39], 2.0, -v[106:107]
	v_add_f64 v[20:21], v[72:73], -v[122:123]
	v_add_f64 v[22:23], v[74:75], -v[124:125]
	ds_write_b128 v52, v[92:95]
	buffer_store_dword v52, off, s[52:55], 0 offset:1100 ; 4-byte Folded Spill
	ds_write_b128 v52, v[76:79] offset:32
	v_and_or_b32 v52, v136, s6, v134
	v_lshlrev_b32_e32 v52, 4, v52
	v_fma_f64 v[48:49], v[48:49], 2.0, -v[0:1]
	v_fma_f64 v[50:51], v[50:51], 2.0, -v[2:3]
	v_add_f64 v[32:33], v[44:45], -v[126:127]
	v_add_f64 v[34:35], v[46:47], -v[128:129]
	ds_write_b128 v52, v[16:19]
	v_and_or_b32 v16, v137, s6, v134
	v_lshlrev_b32_e32 v16, 4, v16
	s_movk_i32 s6, 0x3fc
	v_fma_f64 v[10:11], v[54:55], 2.0, -v[6:7]
	v_add_f64 v[40:41], v[56:57], -v[130:131]
	v_add_f64 v[42:43], v[58:59], -v[132:133]
	ds_write_b128 v52, v[80:83] offset:32
	ds_write_b128 v16, v[96:99]
	buffer_store_dword v16, off, s[52:55], 0 offset:1092 ; 4-byte Folded Spill
	ds_write_b128 v16, v[84:87] offset:32
	v_and_or_b32 v16, v138, s6, v134
	v_lshlrev_b32_e32 v16, 4, v16
	v_fma_f64 v[24:25], v[68:69], 2.0, -v[12:13]
	v_fma_f64 v[26:27], v[70:71], 2.0, -v[14:15]
	ds_write_b128 v16, v[108:111]
	buffer_store_dword v16, off, s[52:55], 0 offset:1088 ; 4-byte Folded Spill
	ds_write_b128 v16, v[100:103] offset:32
	v_and_or_b32 v16, v139, s7, v134
	v_lshlrev_b32_e32 v16, 4, v16
	v_fma_f64 v[28:29], v[72:73], 2.0, -v[20:21]
	v_fma_f64 v[30:31], v[74:75], 2.0, -v[22:23]
	;; [unrolled: 7-line block ×4, first 2 shown]
	ds_write_b128 v16, v[8:11]
	buffer_store_dword v16, off, s[52:55], 0 offset:1068 ; 4-byte Folded Spill
	ds_write_b128 v16, v[4:7] offset:32
	v_and_or_b32 v16, v142, s6, v134
	v_lshlrev_b32_e32 v16, 4, v16
	s_movk_i32 s6, 0x7fc
	ds_write_b128 v16, v[24:27]
	buffer_store_dword v16, off, s[52:55], 0 offset:1072 ; 4-byte Folded Spill
	ds_write_b128 v16, v[12:15] offset:32
	v_and_or_b32 v16, v143, s6, v134
	v_lshlrev_b32_e32 v16, 4, v16
	s_movk_i32 s6, 0x4fc
	ds_write_b128 v16, v[28:31]
	buffer_store_dword v16, off, s[52:55], 0 offset:1076 ; 4-byte Folded Spill
	ds_write_b128 v16, v[20:23] offset:32
	v_and_or_b32 v16, v144, s6, v134
	v_lshlrev_b32_e32 v16, 4, v16
	ds_write_b128 v16, v[36:39]
	buffer_store_dword v16, off, s[52:55], 0 offset:1080 ; 4-byte Folded Spill
	ds_write_b128 v16, v[32:35] offset:32
	v_and_or_b32 v16, v145, s6, v134
	v_lshlrev_b32_e32 v16, 4, v16
	buffer_store_dword v146, off, s[52:55], 0 offset:804 ; 4-byte Folded Spill
	buffer_store_dword v52, off, s[52:55], 0 offset:1096 ; 4-byte Folded Spill
	ds_write_b128 v16, v[44:47]
	buffer_store_dword v16, off, s[52:55], 0 offset:1084 ; 4-byte Folded Spill
	ds_write_b128 v16, v[40:43] offset:32
	s_waitcnt lgkmcnt(0)
	; wave barrier
	s_waitcnt lgkmcnt(0)
	ds_read_b128 v[16:19], v216
	ds_read_b128 v[144:147], v216 offset:1536
	ds_read_b128 v[92:95], v216 offset:3072
	;; [unrolled: 1-line block ×12, first 2 shown]
	buffer_store_dword v148, off, s[52:55], 0 ; 4-byte Folded Spill
                                        ; implicit-def: $vgpr148_vgpr149
	s_and_saveexec_b64 s[6:7], vcc
	s_cbranch_execz .LBB0_3
; %bb.2:
	ds_read_b128 v[0:3], v216 offset:832
	ds_read_b128 v[8:11], v216 offset:2368
	;; [unrolled: 1-line block ×13, first 2 shown]
.LBB0_3:
	s_or_b64 exec, exec, s[6:7]
	buffer_load_dword v253, off, s[52:55], 0 ; 4-byte Folded Reload
	s_mov_b32 s22, 0x4267c47c
	s_mov_b32 s20, 0x24c2f84
	;; [unrolled: 1-line block ×36, first 2 shown]
	s_waitcnt vmcnt(0)
	v_and_b32_e32 v52, 3, v253
	v_mul_u32_u24_e32 v96, 12, v52
	buffer_store_dword v52, off, s[52:55], 0 offset:4 ; 4-byte Folded Spill
	v_lshlrev_b32_e32 v104, 4, v96
	global_load_dwordx4 v[54:57], v104, s[2:3] offset:32
	global_load_dwordx4 v[100:103], v104, s[2:3] offset:48
	;; [unrolled: 1-line block ×11, first 2 shown]
	s_nop 0
	global_load_dwordx4 v[104:107], v104, s[2:3] offset:208
	s_waitcnt vmcnt(11) lgkmcnt(11)
	v_mul_f64 v[156:157], v[146:147], v[56:57]
	v_mul_f64 v[158:159], v[144:145], v[56:57]
	s_waitcnt vmcnt(10) lgkmcnt(10)
	v_mul_f64 v[160:161], v[94:95], v[102:103]
	v_mul_f64 v[162:163], v[92:93], v[102:103]
	;; [unrolled: 3-line block ×3, first 2 shown]
	s_waitcnt vmcnt(8) lgkmcnt(8)
	v_mul_f64 v[170:171], v[84:85], v[114:115]
	s_waitcnt vmcnt(7) lgkmcnt(7)
	v_mul_f64 v[174:175], v[80:81], v[126:127]
	s_waitcnt vmcnt(5) lgkmcnt(5)
	v_mul_f64 v[182:183], v[72:73], v[138:139]
	s_waitcnt vmcnt(4) lgkmcnt(4)
	v_mul_f64 v[186:187], v[68:69], v[130:131]
	s_waitcnt vmcnt(3) lgkmcnt(3)
	v_mul_f64 v[190:191], v[64:65], v[98:99]
	v_mul_f64 v[209:210], v[10:11], v[56:57]
	v_mul_f64 v[213:214], v[6:7], v[102:103]
	v_mul_f64 v[219:220], v[26:27], v[110:111]
	v_mul_f64 v[168:169], v[86:87], v[114:115]
	v_mul_f64 v[172:173], v[82:83], v[126:127]
	v_mul_f64 v[180:181], v[74:75], v[138:139]
	v_mul_f64 v[184:185], v[70:71], v[130:131]
	v_mul_f64 v[188:189], v[66:67], v[98:99]
	v_mul_f64 v[211:212], v[8:9], v[56:57]
	v_mul_f64 v[217:218], v[4:5], v[102:103]
	v_mul_f64 v[221:222], v[24:25], v[110:111]
	v_fma_f64 v[144:145], v[144:145], v[54:55], -v[156:157]
	v_fma_f64 v[146:147], v[146:147], v[54:55], v[158:159]
	v_fma_f64 v[92:93], v[92:93], v[100:101], -v[160:161]
	v_fma_f64 v[94:95], v[94:95], v[100:101], v[162:163]
	v_fma_f64 v[88:89], v[88:89], v[108:109], -v[164:165]
	v_fma_f64 v[90:91], v[90:91], v[108:109], v[166:167]
	v_fma_f64 v[158:159], v[86:87], v[112:113], v[170:171]
	v_fma_f64 v[86:87], v[82:83], v[124:125], v[174:175]
	;; [unrolled: 1-line block ×5, first 2 shown]
	v_fma_f64 v[74:75], v[8:9], v[54:55], -v[209:210]
	buffer_store_dword v54, off, s[52:55], 0 offset:40 ; 4-byte Folded Spill
	s_nop 0
	buffer_store_dword v55, off, s[52:55], 0 offset:44 ; 4-byte Folded Spill
	buffer_store_dword v56, off, s[52:55], 0 offset:48 ; 4-byte Folded Spill
	buffer_store_dword v57, off, s[52:55], 0 offset:52 ; 4-byte Folded Spill
	v_fma_f64 v[70:71], v[4:5], v[100:101], -v[213:214]
	buffer_store_dword v100, off, s[52:55], 0 offset:72 ; 4-byte Folded Spill
	s_nop 0
	buffer_store_dword v101, off, s[52:55], 0 offset:76 ; 4-byte Folded Spill
	buffer_store_dword v102, off, s[52:55], 0 offset:80 ; 4-byte Folded Spill
	buffer_store_dword v103, off, s[52:55], 0 offset:84 ; 4-byte Folded Spill
	;; [unrolled: 6-line block ×3, first 2 shown]
	v_mul_f64 v[176:177], v[78:79], v[142:143]
	v_mul_f64 v[178:179], v[76:77], v[142:143]
	s_waitcnt vmcnt(14) lgkmcnt(2)
	v_mul_f64 v[192:193], v[50:51], v[122:123]
	v_mul_f64 v[194:195], v[48:49], v[122:123]
	s_waitcnt vmcnt(13) lgkmcnt(1)
	;; [unrolled: 3-line block ×3, first 2 shown]
	v_mul_f64 v[52:53], v[207:208], v[106:107]
	v_mul_f64 v[58:59], v[205:206], v[106:107]
	;; [unrolled: 1-line block ×11, first 2 shown]
	v_fma_f64 v[160:161], v[68:69], v[128:129], -v[184:185]
	v_add_f64 v[68:69], v[18:19], v[146:147]
	v_mul_f64 v[225:226], v[12:13], v[114:115]
	v_mul_f64 v[245:246], v[44:45], v[98:99]
	;; [unrolled: 1-line block ×5, first 2 shown]
	v_fma_f64 v[156:157], v[84:85], v[112:113], -v[168:169]
	v_fma_f64 v[84:85], v[80:81], v[124:125], -v[172:173]
	v_fma_f64 v[76:77], v[76:77], v[140:141], -v[176:177]
	v_fma_f64 v[78:79], v[78:79], v[140:141], v[178:179]
	v_fma_f64 v[80:81], v[72:73], v[136:137], -v[180:181]
	v_fma_f64 v[164:165], v[64:65], v[96:97], -v[188:189]
	;; [unrolled: 1-line block ×3, first 2 shown]
	v_fma_f64 v[170:171], v[50:51], v[120:121], v[194:195]
	v_fma_f64 v[172:173], v[132:133], v[116:117], -v[198:199]
	v_fma_f64 v[174:175], v[134:135], v[116:117], v[203:204]
	v_fma_f64 v[176:177], v[205:206], v[104:105], -v[52:53]
	v_add_f64 v[52:53], v[68:69], v[94:95]
	v_fma_f64 v[178:179], v[207:208], v[104:105], v[58:59]
	v_fma_f64 v[56:57], v[20:21], v[140:141], -v[231:232]
	v_add_f64 v[64:65], v[16:17], v[144:145]
	v_mul_f64 v[233:234], v[20:21], v[142:143]
	v_mul_f64 v[227:228], v[30:31], v[126:127]
	v_add_f64 v[184:185], v[94:95], -v[174:175]
	v_add_f64 v[186:187], v[92:93], -v[172:173]
	v_add_f64 v[94:95], v[94:95], v[174:175]
	v_add_f64 v[8:9], v[146:147], -v[178:179]
	v_mul_f64 v[239:240], v[34:35], v[130:131]
	v_add_f64 v[48:49], v[64:65], v[92:93]
	v_fma_f64 v[58:59], v[22:23], v[140:141], v[233:234]
	v_fma_f64 v[209:210], v[28:29], v[124:125], -v[227:228]
	v_add_f64 v[92:93], v[92:93], v[172:173]
	v_mul_f64 v[241:242], v[32:33], v[130:131]
	v_mov_b32_e32 v133, v131
	v_mul_f64 v[20:21], v[8:9], s[22:23]
	v_mul_f64 v[24:25], v[8:9], s[14:15]
	v_add_f64 v[4:5], v[48:49], v[88:89]
	v_mul_f64 v[28:29], v[8:9], s[24:25]
	v_fma_f64 v[32:33], v[32:33], v[128:129], -v[239:240]
	v_mov_b32_e32 v132, v130
	v_fma_f64 v[34:35], v[34:35], v[128:129], v[241:242]
	v_mov_b32_e32 v131, v129
	v_mov_b32_e32 v130, v128
	v_add_f64 v[4:5], v[4:5], v[156:157]
	v_add_f64 v[4:5], v[4:5], v[84:85]
	v_fma_f64 v[50:51], v[10:11], v[54:55], v[211:212]
	v_fma_f64 v[54:55], v[36:37], v[136:137], -v[235:236]
	v_fma_f64 v[72:73], v[6:7], v[100:101], v[217:218]
	v_fma_f64 v[217:218], v[30:31], v[124:125], v[229:230]
	;; [unrolled: 1-line block ×3, first 2 shown]
	v_fma_f64 v[222:223], v[12:13], v[112:113], -v[223:224]
	buffer_store_dword v112, off, s[52:55], 0 offset:136 ; 4-byte Folded Spill
	s_nop 0
	buffer_store_dword v113, off, s[52:55], 0 offset:140 ; 4-byte Folded Spill
	buffer_store_dword v114, off, s[52:55], 0 offset:144 ; 4-byte Folded Spill
	;; [unrolled: 1-line block ×3, first 2 shown]
	v_fma_f64 v[236:237], v[38:39], v[136:137], v[237:238]
	v_fma_f64 v[220:221], v[44:45], v[96:97], -v[243:244]
	buffer_store_dword v96, off, s[52:55], 0 offset:152 ; 4-byte Folded Spill
	s_nop 0
	buffer_store_dword v97, off, s[52:55], 0 offset:156 ; 4-byte Folded Spill
	buffer_store_dword v98, off, s[52:55], 0 offset:160 ; 4-byte Folded Spill
	buffer_store_dword v99, off, s[52:55], 0 offset:164 ; 4-byte Folded Spill
	v_fma_f64 v[230:231], v[40:41], v[120:121], -v[247:248]
	buffer_store_dword v120, off, s[52:55], 0 offset:120 ; 4-byte Folded Spill
	s_nop 0
	buffer_store_dword v121, off, s[52:55], 0 offset:124 ; 4-byte Folded Spill
	buffer_store_dword v122, off, s[52:55], 0 offset:128 ; 4-byte Folded Spill
	buffer_store_dword v123, off, s[52:55], 0 offset:132 ; 4-byte Folded Spill
	;; [unrolled: 6-line block ×4, first 2 shown]
	v_add_f64 v[6:7], v[52:53], v[90:91]
	v_add_f64 v[4:5], v[4:5], v[76:77]
	v_add_f64 v[10:11], v[144:145], -v[176:177]
	v_add_f64 v[12:13], v[144:145], v[176:177]
	v_mul_f64 v[44:45], v[8:9], s[20:21]
	v_mul_f64 v[40:41], v[8:9], s[28:29]
	;; [unrolled: 1-line block ×3, first 2 shown]
	v_mov_b32_e32 v108, v124
	v_add_f64 v[6:7], v[6:7], v[158:159]
	v_add_f64 v[4:5], v[4:5], v[80:81]
	v_mul_f64 v[22:23], v[10:11], s[22:23]
	v_mul_f64 v[26:27], v[10:11], s[14:15]
	v_mul_f64 v[30:31], v[10:11], s[24:25]
	v_fma_f64 v[180:181], v[12:13], s[26:27], -v[44:45]
	v_fma_f64 v[44:45], v[12:13], s[26:27], v[44:45]
	v_fma_f64 v[188:189], v[12:13], s[30:31], -v[8:9]
	v_add_f64 v[6:7], v[6:7], v[86:87]
	v_add_f64 v[4:5], v[4:5], v[160:161]
	v_fma_f64 v[8:9], v[12:13], s[30:31], v[8:9]
	v_mov_b32_e32 v100, v136
	v_mov_b32_e32 v109, v125
	v_add_f64 v[180:181], v[16:17], v[180:181]
	v_mov_b32_e32 v110, v126
	v_add_f64 v[188:189], v[16:17], v[188:189]
	v_add_f64 v[6:7], v[6:7], v[78:79]
	;; [unrolled: 1-line block ×4, first 2 shown]
	v_mov_b32_e32 v111, v127
	v_mov_b32_e32 v101, v137
	;; [unrolled: 1-line block ×4, first 2 shown]
	v_add_f64 v[6:7], v[6:7], v[82:83]
	v_add_f64 v[4:5], v[4:5], v[168:169]
	;; [unrolled: 1-line block ×4, first 2 shown]
	v_mul_f64 v[172:173], v[184:185], s[14:15]
	v_add_f64 v[6:7], v[6:7], v[166:167]
	v_add_f64 v[4:5], v[4:5], v[176:177]
	v_fma_f64 v[176:177], v[12:13], s[18:19], -v[40:41]
	v_fma_f64 v[40:41], v[12:13], s[18:19], v[40:41]
	v_add_f64 v[6:7], v[6:7], v[170:171]
	v_add_f64 v[176:177], v[16:17], v[176:177]
	;; [unrolled: 1-line block ×4, first 2 shown]
	v_mul_f64 v[174:175], v[186:187], s[14:15]
	v_fma_f64 v[64:65], v[14:15], v[112:113], v[225:226]
	v_add_f64 v[14:15], v[146:147], v[178:179]
	v_fma_f64 v[146:147], v[12:13], s[12:13], -v[24:25]
	v_fma_f64 v[228:229], v[46:47], v[96:97], v[245:246]
	v_fma_f64 v[46:47], v[12:13], s[6:7], -v[20:21]
	v_fma_f64 v[207:208], v[42:43], v[120:121], v[254:255]
	v_mul_f64 v[42:43], v[10:11], s[28:29]
	v_fma_f64 v[52:53], v[150:151], v[116:117], v[251:252]
	v_fma_f64 v[20:21], v[12:13], s[6:7], v[20:21]
	;; [unrolled: 1-line block ×3, first 2 shown]
	v_mul_f64 v[154:155], v[10:11], s[20:21]
	v_fma_f64 v[144:145], v[14:15], s[6:7], v[22:23]
	v_mul_f64 v[10:11], v[10:11], s[34:35]
	v_fma_f64 v[22:23], v[14:15], s[6:7], -v[22:23]
	v_fma_f64 v[148:149], v[14:15], s[12:13], v[26:27]
	v_fma_f64 v[24:25], v[12:13], s[12:13], v[24:25]
	v_fma_f64 v[26:27], v[14:15], s[12:13], -v[26:27]
	v_fma_f64 v[150:151], v[12:13], s[16:17], -v[28:29]
	v_fma_f64 v[182:183], v[14:15], s[26:27], v[154:155]
	v_fma_f64 v[154:155], v[14:15], s[26:27], -v[154:155]
	v_fma_f64 v[152:153], v[14:15], s[16:17], v[30:31]
	v_fma_f64 v[28:29], v[12:13], s[16:17], v[28:29]
	v_fma_f64 v[30:31], v[14:15], s[16:17], -v[30:31]
	v_add_f64 v[46:47], v[16:17], v[46:47]
	v_add_f64 v[144:145], v[18:19], v[144:145]
	;; [unrolled: 1-line block ×3, first 2 shown]
	v_fma_f64 v[178:179], v[14:15], s[18:19], v[42:43]
	v_fma_f64 v[42:43], v[14:15], s[18:19], -v[42:43]
	v_fma_f64 v[190:191], v[14:15], s[30:31], v[10:11]
	v_fma_f64 v[10:11], v[14:15], s[30:31], -v[10:11]
	v_add_f64 v[12:13], v[16:17], v[44:45]
	v_add_f64 v[14:15], v[18:19], v[154:155]
	v_fma_f64 v[44:45], v[92:93], s[12:13], -v[172:173]
	v_fma_f64 v[154:155], v[94:95], s[12:13], v[174:175]
	v_add_f64 v[20:21], v[16:17], v[20:21]
	v_add_f64 v[146:147], v[16:17], v[146:147]
	;; [unrolled: 1-line block ×5, first 2 shown]
	v_mul_f64 v[16:17], v[184:185], s[28:29]
	v_add_f64 v[44:45], v[44:45], v[46:47]
	v_add_f64 v[46:47], v[154:155], v[144:145]
	v_mul_f64 v[144:145], v[184:185], s[34:35]
	v_add_f64 v[22:23], v[18:19], v[22:23]
	v_add_f64 v[148:149], v[18:19], v[148:149]
	;; [unrolled: 1-line block ×10, first 2 shown]
	v_mul_f64 v[18:19], v[186:187], s[28:29]
	v_mul_f64 v[154:155], v[186:187], s[34:35]
	v_fma_f64 v[192:193], v[92:93], s[18:19], -v[16:17]
	v_fma_f64 v[16:17], v[92:93], s[18:19], v[16:17]
	v_fma_f64 v[196:197], v[92:93], s[30:31], -v[144:145]
	v_fma_f64 v[172:173], v[92:93], s[12:13], v[172:173]
	;; [unrolled: 2-line block ×3, first 2 shown]
	v_fma_f64 v[194:195], v[94:95], s[18:19], v[18:19]
	v_fma_f64 v[18:19], v[94:95], s[18:19], -v[18:19]
	v_fma_f64 v[198:199], v[94:95], s[30:31], v[154:155]
	v_add_f64 v[16:17], v[16:17], v[24:25]
	v_add_f64 v[24:25], v[196:197], v[150:151]
	v_mul_f64 v[150:151], v[184:185], s[40:41]
	v_add_f64 v[20:21], v[172:173], v[20:21]
	v_add_f64 v[146:147], v[192:193], v[146:147]
	v_mul_f64 v[172:173], v[184:185], s[42:43]
	;; [unrolled: 3-line block ×3, first 2 shown]
	v_add_f64 v[22:23], v[174:175], v[22:23]
	v_fma_f64 v[192:193], v[92:93], s[26:27], -v[150:151]
	v_add_f64 v[148:149], v[194:195], v[148:149]
	v_mul_f64 v[174:175], v[186:187], s[42:43]
	v_fma_f64 v[154:155], v[94:95], s[30:31], -v[154:155]
	v_fma_f64 v[150:151], v[92:93], s[26:27], v[150:151]
	v_fma_f64 v[196:197], v[92:93], s[16:17], -v[172:173]
	v_fma_f64 v[194:195], v[94:95], s[26:27], v[152:153]
	v_add_f64 v[28:29], v[144:145], v[28:29]
	v_add_f64 v[144:145], v[192:193], v[176:177]
	v_add_f64 v[176:177], v[90:91], -v[170:171]
	v_fma_f64 v[152:153], v[94:95], s[26:27], -v[152:153]
	v_fma_f64 v[198:199], v[94:95], s[16:17], v[174:175]
	v_add_f64 v[30:31], v[154:155], v[30:31]
	v_add_f64 v[40:41], v[150:151], v[40:41]
	;; [unrolled: 1-line block ×4, first 2 shown]
	v_add_f64 v[178:179], v[88:89], -v[168:169]
	v_mul_f64 v[180:181], v[184:185], s[36:37]
	v_add_f64 v[88:89], v[88:89], v[168:169]
	v_mul_f64 v[168:169], v[176:177], s[24:25]
	v_add_f64 v[42:43], v[152:153], v[42:43]
	v_add_f64 v[152:153], v[198:199], v[182:183]
	v_mul_f64 v[182:183], v[186:187], s[36:37]
	v_add_f64 v[90:91], v[90:91], v[170:171]
	v_mul_f64 v[170:171], v[178:179], s[24:25]
	v_fma_f64 v[172:173], v[92:93], s[16:17], v[172:173]
	v_fma_f64 v[184:185], v[92:93], s[6:7], -v[180:181]
	v_fma_f64 v[92:93], v[92:93], s[6:7], v[180:181]
	v_fma_f64 v[180:181], v[88:89], s[16:17], -v[168:169]
	v_fma_f64 v[174:175], v[94:95], s[16:17], -v[174:175]
	v_fma_f64 v[186:187], v[94:95], s[6:7], v[182:183]
	v_fma_f64 v[94:95], v[94:95], s[6:7], -v[182:183]
	v_fma_f64 v[182:183], v[90:91], s[16:17], v[170:171]
	v_fma_f64 v[168:169], v[88:89], s[16:17], v[168:169]
	v_add_f64 v[12:13], v[172:173], v[12:13]
	v_add_f64 v[8:9], v[92:93], v[8:9]
	;; [unrolled: 1-line block ×3, first 2 shown]
	v_mul_f64 v[92:93], v[176:177], s[34:35]
	v_mul_f64 v[180:181], v[176:177], s[38:39]
	v_add_f64 v[172:173], v[184:185], v[188:189]
	v_add_f64 v[10:11], v[94:95], v[10:11]
	;; [unrolled: 1-line block ×3, first 2 shown]
	v_mul_f64 v[94:95], v[178:179], s[34:35]
	v_fma_f64 v[170:171], v[90:91], s[16:17], -v[170:171]
	v_mul_f64 v[182:183], v[178:179], s[38:39]
	v_fma_f64 v[184:185], v[88:89], s[30:31], -v[92:93]
	v_fma_f64 v[92:93], v[88:89], s[30:31], v[92:93]
	v_add_f64 v[20:21], v[168:169], v[20:21]
	v_fma_f64 v[168:169], v[88:89], s[18:19], -v[180:181]
	v_add_f64 v[14:15], v[174:175], v[14:15]
	v_add_f64 v[174:175], v[186:187], v[190:191]
	v_fma_f64 v[186:187], v[90:91], s[30:31], v[94:95]
	v_fma_f64 v[94:95], v[90:91], s[30:31], -v[94:95]
	v_add_f64 v[22:23], v[170:171], v[22:23]
	v_fma_f64 v[170:171], v[90:91], s[18:19], v[182:183]
	v_add_f64 v[16:17], v[92:93], v[16:17]
	v_mul_f64 v[92:93], v[176:177], s[36:37]
	v_add_f64 v[24:25], v[168:169], v[24:25]
	v_mul_f64 v[168:169], v[176:177], s[14:15]
	v_add_f64 v[146:147], v[184:185], v[146:147]
	v_add_f64 v[18:19], v[94:95], v[18:19]
	v_mul_f64 v[94:95], v[178:179], s[36:37]
	v_add_f64 v[26:27], v[170:171], v[26:27]
	v_mul_f64 v[170:171], v[178:179], s[14:15]
	v_fma_f64 v[184:185], v[88:89], s[6:7], -v[92:93]
	v_fma_f64 v[92:93], v[88:89], s[6:7], v[92:93]
	v_fma_f64 v[188:189], v[88:89], s[12:13], -v[168:169]
	v_add_f64 v[148:149], v[186:187], v[148:149]
	v_fma_f64 v[180:181], v[88:89], s[18:19], v[180:181]
	v_fma_f64 v[186:187], v[90:91], s[6:7], v[94:95]
	v_fma_f64 v[94:95], v[90:91], s[6:7], -v[94:95]
	v_fma_f64 v[190:191], v[90:91], s[12:13], v[170:171]
	v_mul_f64 v[176:177], v[176:177], s[20:21]
	v_add_f64 v[40:41], v[92:93], v[40:41]
	v_add_f64 v[92:93], v[188:189], v[150:151]
	v_add_f64 v[150:151], v[158:159], -v[166:167]
	v_fma_f64 v[182:183], v[90:91], s[18:19], -v[182:183]
	v_add_f64 v[28:29], v[180:181], v[28:29]
	v_add_f64 v[42:43], v[94:95], v[42:43]
	;; [unrolled: 1-line block ×3, first 2 shown]
	v_add_f64 v[152:153], v[156:157], -v[164:165]
	v_mul_f64 v[178:179], v[178:179], s[20:21]
	v_fma_f64 v[168:169], v[88:89], s[12:13], v[168:169]
	v_add_f64 v[156:157], v[156:157], v[164:165]
	v_mul_f64 v[164:165], v[150:151], s[28:29]
	v_fma_f64 v[180:181], v[88:89], s[26:27], -v[176:177]
	v_fma_f64 v[88:89], v[88:89], s[26:27], v[176:177]
	v_add_f64 v[30:31], v[182:183], v[30:31]
	v_fma_f64 v[170:171], v[90:91], s[12:13], -v[170:171]
	v_add_f64 v[158:159], v[158:159], v[166:167]
	v_mul_f64 v[166:167], v[152:153], s[28:29]
	v_fma_f64 v[182:183], v[90:91], s[26:27], v[178:179]
	v_fma_f64 v[90:91], v[90:91], s[26:27], -v[178:179]
	v_add_f64 v[12:13], v[168:169], v[12:13]
	v_fma_f64 v[168:169], v[156:157], s[18:19], -v[164:165]
	v_add_f64 v[8:9], v[88:89], v[8:9]
	v_mul_f64 v[88:89], v[150:151], s[40:41]
	v_add_f64 v[14:15], v[170:171], v[14:15]
	v_fma_f64 v[170:171], v[158:159], s[18:19], v[166:167]
	v_fma_f64 v[164:165], v[156:157], s[18:19], v[164:165]
	v_add_f64 v[10:11], v[90:91], v[10:11]
	v_mul_f64 v[90:91], v[152:153], s[40:41]
	v_add_f64 v[44:45], v[168:169], v[44:45]
	v_mul_f64 v[168:169], v[150:151], s[36:37]
	v_fma_f64 v[176:177], v[156:157], s[26:27], -v[88:89]
	v_fma_f64 v[88:89], v[156:157], s[26:27], v[88:89]
	v_add_f64 v[172:173], v[180:181], v[172:173]
	v_add_f64 v[46:47], v[170:171], v[46:47]
	v_mul_f64 v[170:171], v[152:153], s[36:37]
	v_fma_f64 v[166:167], v[158:159], s[18:19], -v[166:167]
	v_fma_f64 v[178:179], v[158:159], s[26:27], v[90:91]
	v_fma_f64 v[90:91], v[158:159], s[26:27], -v[90:91]
	v_fma_f64 v[180:181], v[156:157], s[6:7], -v[168:169]
	v_add_f64 v[20:21], v[164:165], v[20:21]
	v_add_f64 v[16:17], v[88:89], v[16:17]
	v_mul_f64 v[88:89], v[150:151], s[24:25]
	v_mul_f64 v[164:165], v[150:151], s[44:45]
	v_add_f64 v[174:175], v[182:183], v[174:175]
	v_fma_f64 v[182:183], v[158:159], s[6:7], v[170:171]
	v_add_f64 v[22:23], v[166:167], v[22:23]
	v_add_f64 v[146:147], v[176:177], v[146:147]
	;; [unrolled: 1-line block ×4, first 2 shown]
	v_mul_f64 v[90:91], v[152:153], s[24:25]
	v_mul_f64 v[166:167], v[152:153], s[44:45]
	v_fma_f64 v[176:177], v[156:157], s[16:17], -v[88:89]
	v_fma_f64 v[88:89], v[156:157], s[16:17], v[88:89]
	v_fma_f64 v[180:181], v[156:157], s[30:31], -v[164:165]
	v_add_f64 v[148:149], v[178:179], v[148:149]
	v_add_f64 v[26:27], v[182:183], v[26:27]
	v_fma_f64 v[168:169], v[156:157], s[6:7], v[168:169]
	v_fma_f64 v[178:179], v[158:159], s[16:17], v[90:91]
	v_fma_f64 v[90:91], v[158:159], s[16:17], -v[90:91]
	v_fma_f64 v[182:183], v[158:159], s[30:31], v[166:167]
	v_add_f64 v[40:41], v[88:89], v[40:41]
	v_add_f64 v[88:89], v[180:181], v[92:93]
	v_add_f64 v[92:93], v[86:87], -v[162:163]
	v_fma_f64 v[170:171], v[158:159], s[6:7], -v[170:171]
	v_mul_f64 v[150:151], v[150:151], s[46:47]
	v_mul_f64 v[152:153], v[152:153], s[46:47]
	v_add_f64 v[42:43], v[90:91], v[42:43]
	v_add_f64 v[90:91], v[182:183], v[94:95]
	v_add_f64 v[94:95], v[84:85], -v[160:161]
	v_add_f64 v[84:85], v[84:85], v[160:161]
	v_mul_f64 v[160:161], v[92:93], s[20:21]
	v_add_f64 v[28:29], v[168:169], v[28:29]
	v_add_f64 v[30:31], v[170:171], v[30:31]
	v_fma_f64 v[164:165], v[156:157], s[30:31], v[164:165]
	v_add_f64 v[86:87], v[86:87], v[162:163]
	v_fma_f64 v[168:169], v[156:157], s[12:13], -v[150:151]
	v_mul_f64 v[162:163], v[94:95], s[20:21]
	v_fma_f64 v[170:171], v[158:159], s[12:13], v[152:153]
	v_fma_f64 v[150:151], v[156:157], s[12:13], v[150:151]
	v_fma_f64 v[152:153], v[158:159], s[12:13], -v[152:153]
	v_fma_f64 v[156:157], v[84:85], s[26:27], -v[160:161]
	;; [unrolled: 1-line block ×3, first 2 shown]
	v_add_f64 v[12:13], v[164:165], v[12:13]
	v_add_f64 v[164:165], v[168:169], v[172:173]
	v_fma_f64 v[158:159], v[86:87], s[26:27], v[162:163]
	v_add_f64 v[144:145], v[184:185], v[144:145]
	v_add_f64 v[8:9], v[150:151], v[8:9]
	;; [unrolled: 1-line block ×3, first 2 shown]
	v_mul_f64 v[150:151], v[92:93], s[42:43]
	v_mul_f64 v[152:153], v[94:95], s[42:43]
	v_add_f64 v[44:45], v[156:157], v[44:45]
	v_fma_f64 v[156:157], v[84:85], s[26:27], v[160:161]
	v_mul_f64 v[160:161], v[92:93], s[14:15]
	v_add_f64 v[14:15], v[166:167], v[14:15]
	v_add_f64 v[166:167], v[170:171], v[174:175]
	;; [unrolled: 1-line block ×3, first 2 shown]
	v_fma_f64 v[158:159], v[86:87], s[26:27], -v[162:163]
	v_mul_f64 v[162:163], v[94:95], s[14:15]
	v_fma_f64 v[168:169], v[84:85], s[16:17], -v[150:151]
	v_fma_f64 v[170:171], v[86:87], s[16:17], v[152:153]
	v_fma_f64 v[150:151], v[84:85], s[16:17], v[150:151]
	v_fma_f64 v[152:153], v[86:87], s[16:17], -v[152:153]
	v_add_f64 v[20:21], v[156:157], v[20:21]
	v_fma_f64 v[156:157], v[84:85], s[12:13], -v[160:161]
	v_add_f64 v[22:23], v[158:159], v[22:23]
	v_fma_f64 v[158:159], v[86:87], s[12:13], v[162:163]
	v_add_f64 v[146:147], v[168:169], v[146:147]
	v_add_f64 v[148:149], v[170:171], v[148:149]
	;; [unrolled: 1-line block ×4, first 2 shown]
	v_mul_f64 v[150:151], v[92:93], s[44:45]
	v_mul_f64 v[152:153], v[94:95], s[44:45]
	v_add_f64 v[24:25], v[156:157], v[24:25]
	v_fma_f64 v[156:157], v[84:85], s[12:13], v[160:161]
	v_mul_f64 v[160:161], v[92:93], s[36:37]
	v_add_f64 v[26:27], v[158:159], v[26:27]
	v_fma_f64 v[158:159], v[86:87], s[12:13], -v[162:163]
	v_mul_f64 v[162:163], v[94:95], s[36:37]
	v_fma_f64 v[168:169], v[84:85], s[30:31], -v[150:151]
	v_fma_f64 v[170:171], v[86:87], s[30:31], v[152:153]
	v_fma_f64 v[150:151], v[84:85], s[30:31], v[150:151]
	v_fma_f64 v[152:153], v[86:87], s[30:31], -v[152:153]
	v_add_f64 v[28:29], v[156:157], v[28:29]
	v_fma_f64 v[156:157], v[84:85], s[6:7], -v[160:161]
	v_add_f64 v[30:31], v[158:159], v[30:31]
	v_fma_f64 v[158:159], v[86:87], s[6:7], v[162:163]
	v_mul_f64 v[92:93], v[92:93], s[28:29]
	v_mul_f64 v[94:95], v[94:95], s[28:29]
	v_add_f64 v[40:41], v[150:151], v[40:41]
	v_add_f64 v[42:43], v[152:153], v[42:43]
	v_add_f64 v[150:151], v[78:79], -v[82:83]
	v_add_f64 v[88:89], v[156:157], v[88:89]
	v_add_f64 v[152:153], v[76:77], -v[80:81]
	v_fma_f64 v[156:157], v[84:85], s[6:7], v[160:161]
	v_add_f64 v[90:91], v[158:159], v[90:91]
	v_fma_f64 v[158:159], v[86:87], s[6:7], -v[162:163]
	v_fma_f64 v[160:161], v[84:85], s[18:19], -v[92:93]
	v_add_f64 v[76:77], v[76:77], v[80:81]
	v_add_f64 v[78:79], v[78:79], v[82:83]
	v_mul_f64 v[80:81], v[150:151], s[34:35]
	v_mul_f64 v[82:83], v[152:153], s[34:35]
	v_fma_f64 v[84:85], v[84:85], s[18:19], v[92:93]
	v_add_f64 v[92:93], v[156:157], v[12:13]
	v_fma_f64 v[12:13], v[86:87], s[18:19], -v[94:95]
	v_fma_f64 v[162:163], v[86:87], s[18:19], v[94:95]
	v_add_f64 v[156:157], v[158:159], v[14:15]
	v_add_f64 v[158:159], v[160:161], v[164:165]
	v_fma_f64 v[14:15], v[76:77], s[30:31], -v[80:81]
	v_mul_f64 v[160:161], v[150:151], s[36:37]
	v_add_f64 v[154:155], v[186:187], v[154:155]
	v_fma_f64 v[94:95], v[78:79], s[30:31], v[82:83]
	v_add_f64 v[164:165], v[12:13], v[10:11]
	v_fma_f64 v[12:13], v[78:79], s[30:31], -v[82:83]
	v_add_f64 v[86:87], v[162:163], v[166:167]
	v_add_f64 v[84:85], v[84:85], v[8:9]
	v_mul_f64 v[162:163], v[152:153], s[36:37]
	v_fma_f64 v[80:81], v[76:77], s[30:31], v[80:81]
	v_add_f64 v[8:9], v[14:15], v[44:45]
	v_mul_f64 v[14:15], v[150:151], s[20:21]
	v_fma_f64 v[44:45], v[76:77], s[6:7], -v[160:161]
	v_add_f64 v[205:206], v[12:13], v[22:23]
	v_fma_f64 v[12:13], v[76:77], s[6:7], v[160:161]
	v_add_f64 v[144:145], v[176:177], v[144:145]
	v_add_f64 v[154:155], v[178:179], v[154:155]
	;; [unrolled: 1-line block ×3, first 2 shown]
	v_fma_f64 v[46:47], v[78:79], s[6:7], v[162:163]
	v_add_f64 v[203:204], v[80:81], v[20:21]
	v_mul_f64 v[20:21], v[152:153], s[20:21]
	v_fma_f64 v[22:23], v[78:79], s[6:7], -v[162:163]
	v_fma_f64 v[80:81], v[76:77], s[26:27], -v[14:15]
	v_add_f64 v[212:213], v[44:45], v[146:147]
	v_mul_f64 v[44:45], v[150:151], s[46:47]
	v_mul_f64 v[82:83], v[152:153], s[46:47]
	v_add_f64 v[224:225], v[12:13], v[16:17]
	v_fma_f64 v[12:13], v[76:77], s[26:27], v[14:15]
	v_add_f64 v[144:145], v[168:169], v[144:145]
	v_add_f64 v[154:155], v[170:171], v[154:155]
	;; [unrolled: 1-line block ×3, first 2 shown]
	v_fma_f64 v[46:47], v[78:79], s[26:27], v[20:21]
	v_add_f64 v[226:227], v[22:23], v[18:19]
	v_add_f64 v[232:233], v[80:81], v[24:25]
	v_fma_f64 v[14:15], v[78:79], s[26:27], -v[20:21]
	v_fma_f64 v[16:17], v[76:77], s[12:13], -v[44:45]
	v_fma_f64 v[18:19], v[78:79], s[12:13], v[82:83]
	v_mul_f64 v[20:21], v[150:151], s[28:29]
	v_mul_f64 v[24:25], v[152:153], s[28:29]
	v_add_f64 v[238:239], v[12:13], v[28:29]
	v_mul_f64 v[28:29], v[152:153], s[42:43]
	v_add_f64 v[234:235], v[46:47], v[26:27]
	v_add_f64 v[240:241], v[14:15], v[30:31]
	;; [unrolled: 1-line block ×3, first 2 shown]
	v_fma_f64 v[12:13], v[78:79], s[12:13], -v[82:83]
	v_add_f64 v[244:245], v[18:19], v[154:155]
	v_fma_f64 v[14:15], v[76:77], s[18:19], -v[20:21]
	v_fma_f64 v[16:17], v[78:79], s[18:19], v[24:25]
	v_fma_f64 v[18:19], v[76:77], s[18:19], v[20:21]
	v_mul_f64 v[26:27], v[150:151], s[42:43]
	v_fma_f64 v[30:31], v[78:79], s[16:17], v[28:29]
	v_fma_f64 v[46:47], v[78:79], s[16:17], -v[28:29]
	v_fma_f64 v[22:23], v[76:77], s[12:13], v[44:45]
	v_add_f64 v[248:249], v[12:13], v[42:43]
	v_add_f64 v[12:13], v[14:15], v[88:89]
	;; [unrolled: 1-line block ×4, first 2 shown]
	v_fma_f64 v[18:19], v[76:77], s[16:17], -v[26:27]
	v_add_f64 v[42:43], v[74:75], v[36:37]
	buffer_store_dword v74, off, s[52:55], 0 offset:740 ; 4-byte Folded Spill
	s_nop 0
	buffer_store_dword v75, off, s[52:55], 0 offset:744 ; 4-byte Folded Spill
	v_fma_f64 v[44:45], v[76:77], s[16:17], v[26:27]
	v_add_f64 v[26:27], v[30:31], v[86:87]
	v_add_f64 v[30:31], v[46:47], v[164:165]
	v_add_f64 v[164:165], v[70:71], -v[38:39]
	buffer_store_dword v70, off, s[52:55], 0 offset:724 ; 4-byte Folded Spill
	s_nop 0
	buffer_store_dword v71, off, s[52:55], 0 offset:728 ; 4-byte Folded Spill
	v_add_f64 v[90:91], v[66:67], -v[230:231]
	buffer_store_dword v66, off, s[52:55], 0 offset:708 ; 4-byte Folded Spill
	s_nop 0
	buffer_store_dword v67, off, s[52:55], 0 offset:712 ; 4-byte Folded Spill
	v_add_f64 v[190:191], v[64:65], -v[228:229]
	v_add_f64 v[150:151], v[222:223], -v[220:221]
	buffer_store_dword v222, off, s[52:55], 0 offset:676 ; 4-byte Folded Spill
	s_nop 0
	buffer_store_dword v223, off, s[52:55], 0 offset:680 ; 4-byte Folded Spill
	buffer_store_dword v64, off, s[52:55], 0 offset:692 ; 4-byte Folded Spill
	s_nop 0
	buffer_store_dword v65, off, s[52:55], 0 offset:696 ; 4-byte Folded Spill
	v_add_f64 v[162:163], v[209:210], -v[32:33]
	buffer_store_dword v32, off, s[52:55], 0 offset:588 ; 4-byte Folded Spill
	s_nop 0
	buffer_store_dword v33, off, s[52:55], 0 offset:592 ; 4-byte Folded Spill
	buffer_store_dword v209, off, s[52:55], 0 offset:644 ; 4-byte Folded Spill
	s_nop 0
	buffer_store_dword v210, off, s[52:55], 0 offset:648 ; 4-byte Folded Spill
	;; [unrolled: 7-line block ×4, first 2 shown]
	v_add_f64 v[176:177], v[50:51], -v[48:49]
	v_add_f64 v[246:247], v[22:23], v[40:41]
	v_fma_f64 v[22:23], v[78:79], s[18:19], -v[24:25]
	v_add_f64 v[24:25], v[18:19], v[158:159]
	v_add_f64 v[188:189], v[72:73], -v[52:53]
	v_add_f64 v[28:29], v[44:45], v[84:85]
	v_mul_f64 v[46:47], v[164:165], s[14:15]
	v_add_f64 v[186:187], v[68:69], -v[207:208]
	v_mul_f64 v[16:17], v[176:177], s[22:23]
	v_mul_f64 v[18:19], v[176:177], s[14:15]
	v_add_f64 v[22:23], v[22:23], v[156:157]
	v_mul_f64 v[156:157], v[164:165], s[28:29]
	v_mul_f64 v[44:45], v[188:189], s[14:15]
	v_mov_b32_e32 v112, v140
	v_mov_b32_e32 v113, v141
	;; [unrolled: 1-line block ×3, first 2 shown]
	v_fma_f64 v[76:77], v[42:43], s[6:7], v[16:17]
	v_fma_f64 v[80:81], v[42:43], s[12:13], v[18:19]
	v_mov_b32_e32 v115, v143
	v_add_f64 v[84:85], v[0:1], v[76:77]
	v_mul_f64 v[76:77], v[188:189], s[28:29]
	v_add_f64 v[94:95], v[0:1], v[80:81]
	v_mul_f64 v[80:81], v[90:91], s[24:25]
	v_add_f64 v[148:149], v[74:75], -v[36:37]
	v_mov_b32_e32 v75, v51
	v_mov_b32_e32 v74, v50
	v_add_f64 v[192:193], v[74:75], v[48:49]
	v_add_f64 v[82:83], v[70:71], v[38:39]
	v_mov_b32_e32 v70, v72
	v_mov_b32_e32 v71, v73
	v_mul_f64 v[40:41], v[148:149], s[22:23]
	v_mul_f64 v[154:155], v[148:149], s[14:15]
	v_add_f64 v[198:199], v[70:71], v[52:53]
	v_add_f64 v[88:89], v[66:67], v[230:231]
	v_mov_b32_e32 v66, v68
	v_add_f64 v[160:161], v[209:210], v[32:33]
	v_add_f64 v[210:211], v[58:59], -v[236:237]
	buffer_store_dword v236, off, s[52:55], 0 offset:612 ; 4-byte Folded Spill
	s_nop 0
	buffer_store_dword v237, off, s[52:55], 0 offset:616 ; 4-byte Folded Spill
	buffer_store_dword v58, off, s[52:55], 0 offset:628 ; 4-byte Folded Spill
	s_nop 0
	buffer_store_dword v59, off, s[52:55], 0 offset:632 ; 4-byte Folded Spill
	v_fma_f64 v[78:79], v[192:193], s[6:7], -v[40:41]
	v_fma_f64 v[86:87], v[192:193], s[12:13], -v[154:155]
	v_mov_b32_e32 v72, v230
	v_mov_b32_e32 v67, v69
	v_fma_f64 v[144:145], v[82:83], s[12:13], v[44:45]
	v_fma_f64 v[146:147], v[198:199], s[12:13], -v[46:47]
	v_mov_b32_e32 v73, v231
	v_add_f64 v[230:231], v[66:67], v[207:208]
	v_add_f64 v[92:93], v[2:3], v[78:79]
	;; [unrolled: 1-line block ×3, first 2 shown]
	v_fma_f64 v[86:87], v[82:83], s[18:19], v[76:77]
	v_mul_f64 v[78:79], v[186:187], s[24:25]
	v_add_f64 v[158:159], v[144:145], v[84:85]
	v_add_f64 v[144:145], v[222:223], v[220:221]
	;; [unrolled: 1-line block ×3, first 2 shown]
	v_mul_f64 v[84:85], v[190:191], s[28:29]
	v_add_f64 v[92:93], v[146:147], v[92:93]
	v_fma_f64 v[166:167], v[198:199], s[18:19], -v[156:157]
	v_add_f64 v[170:171], v[86:87], v[94:95]
	v_fma_f64 v[146:147], v[88:89], s[16:17], v[78:79]
	v_fma_f64 v[94:95], v[230:231], s[16:17], -v[80:81]
	v_mul_f64 v[86:87], v[150:151], s[28:29]
	v_add_f64 v[218:219], v[217:218], v[34:35]
	v_fma_f64 v[174:175], v[144:145], s[18:19], v[84:85]
	v_add_f64 v[180:181], v[166:167], v[152:153]
	v_add_f64 v[166:167], v[56:57], v[54:55]
	;; [unrolled: 1-line block ×4, first 2 shown]
	v_mul_f64 v[146:147], v[186:187], s[34:35]
	v_fma_f64 v[178:179], v[222:223], s[18:19], -v[86:87]
	v_mul_f64 v[92:93], v[194:195], s[20:21]
	v_mul_f64 v[94:95], v[162:163], s[20:21]
	;; [unrolled: 1-line block ×3, first 2 shown]
	v_add_f64 v[174:175], v[174:175], v[158:159]
	v_mul_f64 v[158:159], v[168:169], s[34:35]
	v_fma_f64 v[182:183], v[88:89], s[30:31], v[146:147]
	v_add_f64 v[172:173], v[178:179], v[172:173]
	v_fma_f64 v[178:179], v[160:161], s[26:27], v[92:93]
	v_fma_f64 v[184:185], v[218:219], s[26:27], -v[94:95]
	v_add_f64 v[170:171], v[182:183], v[170:171]
	v_fma_f64 v[182:183], v[166:167], s[30:31], v[152:153]
	v_add_f64 v[174:175], v[178:179], v[174:175]
	v_add_f64 v[172:173], v[184:185], v[172:173]
	v_mul_f64 v[178:179], v[90:91], s[34:35]
	v_add_f64 v[32:33], v[182:183], v[174:175]
	v_fma_f64 v[174:175], v[230:231], s[30:31], -v[178:179]
	v_add_f64 v[174:175], v[174:175], v[180:181]
	v_add_f64 v[236:237], v[58:59], v[236:237]
	v_fma_f64 v[184:185], v[236:237], s[30:31], -v[158:159]
	v_add_f64 v[34:35], v[184:185], v[172:173]
	v_mul_f64 v[172:173], v[190:191], s[40:41]
	v_mul_f64 v[184:185], v[150:151], s[40:41]
	buffer_store_dword v32, off, s[52:55], 0 offset:8 ; 4-byte Folded Spill
	s_nop 0
	buffer_store_dword v33, off, s[52:55], 0 offset:12 ; 4-byte Folded Spill
	buffer_store_dword v34, off, s[52:55], 0 offset:16 ; 4-byte Folded Spill
	;; [unrolled: 1-line block ×3, first 2 shown]
	v_fma_f64 v[180:181], v[144:145], s[26:27], v[172:173]
	v_add_f64 v[170:171], v[180:181], v[170:171]
	v_fma_f64 v[180:181], v[222:223], s[26:27], -v[184:185]
	v_add_f64 v[182:183], v[180:181], v[174:175]
	v_mul_f64 v[174:175], v[194:195], s[42:43]
	v_fma_f64 v[180:181], v[160:161], s[16:17], v[174:175]
	v_add_f64 v[196:197], v[180:181], v[170:171]
	v_mul_f64 v[180:181], v[162:163], s[42:43]
	v_fma_f64 v[170:171], v[218:219], s[16:17], -v[180:181]
	v_add_f64 v[200:201], v[170:171], v[182:183]
	v_mul_f64 v[170:171], v[210:211], s[36:37]
	v_fma_f64 v[182:183], v[166:167], s[6:7], v[170:171]
	v_add_f64 v[32:33], v[182:183], v[196:197]
	v_mul_f64 v[182:183], v[168:169], s[36:37]
	v_fma_f64 v[196:197], v[236:237], s[6:7], -v[182:183]
	v_add_f64 v[34:35], v[196:197], v[200:201]
	buffer_store_dword v32, off, s[52:55], 0 offset:24 ; 4-byte Folded Spill
	s_nop 0
	buffer_store_dword v33, off, s[52:55], 0 offset:28 ; 4-byte Folded Spill
	buffer_store_dword v34, off, s[52:55], 0 offset:32 ; 4-byte Folded Spill
	;; [unrolled: 1-line block ×3, first 2 shown]
	s_waitcnt lgkmcnt(0)
	; wave barrier
	s_waitcnt vmcnt(63) expcnt(7) lgkmcnt(15)
	buffer_load_dword v33, off, s[52:55], 0 offset:4 ; 4-byte Folded Reload
	v_lshrrev_b32_e32 v32, 2, v253
	v_mul_u32_u24_e32 v32, 52, v32
	s_waitcnt vmcnt(0)
	v_or_b32_e32 v32, v32, v33
	v_lshlrev_b32_e32 v217, 4, v32
	ds_write_b128 v217, v[4:7]
	ds_write_b128 v217, v[8:11] offset:64
	ds_write_b128 v217, v[212:215] offset:128
	;; [unrolled: 1-line block ×12, first 2 shown]
	buffer_load_dword v4, off, s[52:55], 0 offset:564 ; 4-byte Folded Reload
	s_waitcnt vmcnt(0)
	v_lshrrev_b32_e32 v4, 2, v4
	buffer_store_dword v4, off, s[52:55], 0 offset:564 ; 4-byte Folded Spill
	s_and_saveexec_b64 s[48:49], vcc
	s_cbranch_execz .LBB0_5
; %bb.4:
	v_mul_f64 v[6:7], v[144:145], s[18:19]
	v_mul_f64 v[4:5], v[192:193], s[30:31]
	;; [unrolled: 1-line block ×4, first 2 shown]
	v_mov_b32_e32 v233, v229
	v_mul_f64 v[26:27], v[222:223], s[12:13]
	v_mul_f64 v[200:201], v[188:189], s[36:37]
	v_mov_b32_e32 v232, v228
	buffer_store_dword v6, off, s[52:55], 0 offset:772 ; 4-byte Folded Spill
	s_nop 0
	buffer_store_dword v7, off, s[52:55], 0 offset:776 ; 4-byte Folded Spill
	v_mul_f64 v[6:7], v[218:219], s[26:27]
	v_fma_f64 v[8:9], v[148:149], s[44:45], v[4:5]
	v_fma_f64 v[254:255], v[42:43], s[30:31], v[14:15]
	v_fma_f64 v[228:229], v[90:91], s[40:41], v[22:23]
	v_fma_f64 v[4:5], v[148:149], s[34:35], v[4:5]
	v_mov_b32_e32 v227, v208
	v_mul_f64 v[12:13], v[218:219], s[18:19]
	v_mov_b32_e32 v226, v207
	buffer_store_dword v6, off, s[52:55], 0 offset:756 ; 4-byte Folded Spill
	s_nop 0
	buffer_store_dword v7, off, s[52:55], 0 offset:760 ; 4-byte Folded Spill
	v_mul_f64 v[6:7], v[198:199], s[6:7]
	v_add_f64 v[8:9], v[2:3], v[8:9]
	v_mul_f64 v[206:207], v[186:187], s[20:21]
	v_fma_f64 v[208:209], v[82:83], s[6:7], v[200:201]
	v_fma_f64 v[14:15], v[42:43], s[30:31], -v[14:15]
	v_add_f64 v[254:255], v[0:1], v[254:255]
	v_add_f64 v[4:5], v[2:3], v[4:5]
	v_mov_b32_e32 v225, v221
	v_fma_f64 v[24:25], v[164:165], s[22:23], v[6:7]
	v_fma_f64 v[6:7], v[164:165], s[36:37], v[6:7]
	v_mul_f64 v[10:11], v[236:237], s[16:17]
	v_fma_f64 v[250:251], v[162:163], s[38:39], v[12:13]
	v_mov_b32_e32 v224, v220
	v_fma_f64 v[220:221], v[88:89], s[26:27], v[206:207]
	v_fma_f64 v[200:201], v[82:83], s[6:7], -v[200:201]
	v_add_f64 v[14:15], v[0:1], v[14:15]
	v_add_f64 v[8:9], v[24:25], v[8:9]
	v_fma_f64 v[24:25], v[150:151], s[14:15], v[26:27]
	v_add_f64 v[208:209], v[208:209], v[254:255]
	v_fma_f64 v[22:23], v[90:91], s[20:21], v[22:23]
	;; [unrolled: 2-line block ×3, first 2 shown]
	v_fma_f64 v[206:207], v[88:89], s[26:27], -v[206:207]
	v_add_f64 v[14:15], v[200:201], v[14:15]
	v_add_f64 v[8:9], v[228:229], v[8:9]
	v_mul_f64 v[228:229], v[190:191], s[46:47]
	v_add_f64 v[200:201], v[220:221], v[208:209]
	v_fma_f64 v[26:27], v[150:151], s[46:47], v[26:27]
	v_add_f64 v[4:5], v[22:23], v[4:5]
	v_mul_f64 v[22:23], v[210:211], s[42:43]
	v_fma_f64 v[12:13], v[162:163], s[28:29], v[12:13]
	v_add_f64 v[14:15], v[206:207], v[14:15]
	v_add_f64 v[6:7], v[24:25], v[8:9]
	v_mul_f64 v[8:9], v[194:195], s[28:29]
	v_fma_f64 v[24:25], v[144:145], s[12:13], v[228:229]
	v_fma_f64 v[220:221], v[144:145], s[12:13], -v[228:229]
	v_add_f64 v[4:5], v[26:27], v[4:5]
	v_fma_f64 v[26:27], v[166:167], s[16:17], v[22:23]
	v_fma_f64 v[10:11], v[168:169], s[42:43], v[10:11]
	v_mul_f64 v[206:207], v[176:177], s[20:21]
	v_add_f64 v[6:7], v[250:251], v[6:7]
	v_fma_f64 v[208:209], v[160:161], s[18:19], v[8:9]
	v_add_f64 v[24:25], v[24:25], v[200:201]
	v_fma_f64 v[8:9], v[160:161], s[18:19], -v[8:9]
	v_add_f64 v[14:15], v[220:221], v[14:15]
	v_add_f64 v[12:13], v[12:13], v[4:5]
	v_mul_f64 v[200:201], v[198:199], s[16:17]
	buffer_load_dword v54, off, s[52:55], 0 offset:740 ; 4-byte Folded Reload
	buffer_load_dword v55, off, s[52:55], 0 offset:744 ; 4-byte Folded Reload
	v_add_f64 v[6:7], v[28:29], v[6:7]
	v_mul_f64 v[28:29], v[192:193], s[26:27]
	v_add_f64 v[24:25], v[208:209], v[24:25]
	v_fma_f64 v[22:23], v[166:167], s[16:17], -v[22:23]
	v_add_f64 v[8:9], v[8:9], v[14:15]
	v_mul_f64 v[14:15], v[230:231], s[12:13]
	v_add_f64 v[10:11], v[10:11], v[12:13]
	v_mul_f64 v[12:13], v[188:189], s[42:43]
	v_mul_f64 v[228:229], v[186:187], s[14:15]
	v_fma_f64 v[208:209], v[148:149], s[40:41], v[28:29]
	v_add_f64 v[4:5], v[26:27], v[24:25]
	v_fma_f64 v[24:25], v[164:165], s[24:25], v[200:201]
	v_fma_f64 v[26:27], v[42:43], s[26:27], v[206:207]
	v_add_f64 v[8:9], v[22:23], v[8:9]
	v_mul_f64 v[22:23], v[222:223], s[30:31]
	v_fma_f64 v[220:221], v[90:91], s[46:47], v[14:15]
	v_fma_f64 v[250:251], v[82:83], s[16:17], v[12:13]
	v_add_f64 v[208:209], v[2:3], v[208:209]
	v_fma_f64 v[28:29], v[148:149], s[20:21], v[28:29]
	v_mul_f64 v[32:33], v[190:191], s[44:45]
	v_add_f64 v[26:27], v[0:1], v[26:27]
	v_fma_f64 v[34:35], v[88:89], s[12:13], v[228:229]
	v_fma_f64 v[254:255], v[150:151], s[34:35], v[22:23]
	;; [unrolled: 1-line block ×3, first 2 shown]
	v_mov_b32_e32 v253, v37
	v_add_f64 v[24:25], v[24:25], v[208:209]
	v_mul_f64 v[208:209], v[218:219], s[6:7]
	v_add_f64 v[28:29], v[2:3], v[28:29]
	v_add_f64 v[26:27], v[250:251], v[26:27]
	v_mov_b32_e32 v215, v39
	v_mov_b32_e32 v252, v36
	v_mul_f64 v[36:37], v[194:195], s[36:37]
	v_mov_b32_e32 v214, v38
	v_add_f64 v[24:25], v[220:221], v[24:25]
	v_mul_f64 v[220:221], v[236:237], s[18:19]
	v_fma_f64 v[250:251], v[162:163], s[22:23], v[208:209]
	v_fma_f64 v[38:39], v[144:145], s[30:31], v[32:33]
	;; [unrolled: 1-line block ×3, first 2 shown]
	v_add_f64 v[28:29], v[200:201], v[28:29]
	v_add_f64 v[26:27], v[34:35], v[26:27]
	v_fma_f64 v[206:207], v[42:43], s[26:27], -v[206:207]
	v_add_f64 v[24:25], v[254:255], v[24:25]
	v_mul_f64 v[34:35], v[210:211], s[28:29]
	v_fma_f64 v[200:201], v[168:169], s[38:39], v[220:221]
	v_fma_f64 v[254:255], v[160:161], s[6:7], v[36:37]
	;; [unrolled: 1-line block ×3, first 2 shown]
	v_add_f64 v[14:15], v[14:15], v[28:29]
	v_add_f64 v[26:27], v[38:39], v[26:27]
	v_mul_f64 v[38:39], v[192:193], s[18:19]
	v_add_f64 v[24:25], v[250:251], v[24:25]
	v_fma_f64 v[12:13], v[82:83], s[16:17], -v[12:13]
	v_add_f64 v[206:207], v[0:1], v[206:207]
	v_fma_f64 v[28:29], v[166:167], s[18:19], v[34:35]
	v_mul_f64 v[250:251], v[198:199], s[26:27]
	v_add_f64 v[14:15], v[22:23], v[14:15]
	v_add_f64 v[22:23], v[254:255], v[26:27]
	v_fma_f64 v[26:27], v[148:149], s[38:39], v[38:39]
	v_add_f64 v[24:25], v[200:201], v[24:25]
	v_fma_f64 v[200:201], v[88:89], s[12:13], -v[228:229]
	v_add_f64 v[12:13], v[12:13], v[206:207]
	v_mul_f64 v[228:229], v[176:177], s[28:29]
	v_fma_f64 v[208:209], v[162:163], s[36:37], v[208:209]
	v_fma_f64 v[206:207], v[168:169], s[28:29], v[220:221]
	v_mul_f64 v[220:221], v[230:231], s[6:7]
	v_fma_f64 v[254:255], v[164:165], s[20:21], v[250:251]
	v_add_f64 v[26:27], v[2:3], v[26:27]
	v_fma_f64 v[32:33], v[144:145], s[30:31], -v[32:33]
	v_add_f64 v[12:13], v[200:201], v[12:13]
	v_add_f64 v[22:23], v[28:29], v[22:23]
	v_mul_f64 v[200:201], v[188:189], s[40:41]
	v_fma_f64 v[28:29], v[42:43], s[18:19], v[228:229]
	v_mov_b32_e32 v213, v49
	v_mov_b32_e32 v204, v53
	v_add_f64 v[14:15], v[208:209], v[14:15]
	v_fma_f64 v[208:209], v[90:91], s[22:23], v[220:221]
	v_add_f64 v[26:27], v[254:255], v[26:27]
	v_mul_f64 v[254:255], v[222:223], s[16:17]
	v_fma_f64 v[36:37], v[160:161], s[6:7], -v[36:37]
	v_add_f64 v[12:13], v[32:33], v[12:13]
	v_mov_b32_e32 v212, v48
	v_fma_f64 v[48:49], v[82:83], s[26:27], v[200:201]
	v_mov_b32_e32 v203, v52
	v_add_f64 v[50:51], v[0:1], v[28:29]
	v_mul_f64 v[52:53], v[186:187], s[36:37]
	v_add_f64 v[26:27], v[208:209], v[26:27]
	v_fma_f64 v[208:209], v[150:151], s[42:43], v[254:255]
	v_fma_f64 v[34:35], v[166:167], s[18:19], -v[34:35]
	v_add_f64 v[12:13], v[36:37], v[12:13]
	v_add_f64 v[28:29], v[206:207], v[14:15]
	v_fma_f64 v[36:37], v[148:149], s[28:29], v[38:39]
	v_add_f64 v[38:39], v[48:49], v[50:51]
	v_fma_f64 v[48:49], v[88:89], s[6:7], v[52:53]
	v_mul_f64 v[206:207], v[190:191], s[24:25]
	v_mov_b32_e32 v197, v73
	v_mul_f64 v[30:31], v[192:193], s[6:7]
	v_mul_f64 v[246:247], v[192:193], s[12:13]
	v_mul_f64 v[32:33], v[218:219], s[30:31]
	v_mov_b32_e32 v196, v72
	v_add_f64 v[50:51], v[208:209], v[26:27]
	v_add_f64 v[26:27], v[34:35], v[12:13]
	v_mul_f64 v[208:209], v[194:195], s[44:45]
	v_fma_f64 v[12:13], v[164:165], s[40:41], v[250:251]
	v_add_f64 v[36:37], v[2:3], v[36:37]
	v_add_f64 v[38:39], v[48:49], v[38:39]
	v_mul_f64 v[48:49], v[192:193], s[16:17]
	v_fma_f64 v[192:193], v[144:145], s[16:17], v[206:207]
	v_fma_f64 v[228:229], v[42:43], s[18:19], -v[228:229]
	s_waitcnt vmcnt(0)
	v_add_f64 v[72:73], v[0:1], v[54:55]
	buffer_load_dword v54, off, s[52:55], 0 offset:724 ; 4-byte Folded Reload
	buffer_load_dword v55, off, s[52:55], 0 offset:728 ; 4-byte Folded Reload
	v_mul_f64 v[120:121], v[198:199], s[12:13]
	v_mul_f64 v[240:241], v[198:199], s[18:19]
	v_fma_f64 v[14:15], v[162:163], s[34:35], v[32:33]
	v_fma_f64 v[220:221], v[90:91], s[36:37], v[220:221]
	v_add_f64 v[12:13], v[12:13], v[36:37]
	v_mul_f64 v[36:37], v[198:199], s[30:31]
	v_fma_f64 v[198:199], v[148:149], s[42:43], v[48:49]
	v_add_f64 v[38:39], v[192:193], v[38:39]
	v_fma_f64 v[192:193], v[160:161], s[30:31], v[208:209]
	v_fma_f64 v[200:201], v[82:83], s[26:27], -v[200:201]
	v_add_f64 v[228:229], v[0:1], v[228:229]
	v_mul_f64 v[98:99], v[230:231], s[16:17]
	v_mul_f64 v[238:239], v[230:231], s[30:31]
	v_add_f64 v[14:15], v[14:15], v[50:51]
	v_mul_f64 v[50:51], v[236:237], s[12:13]
	v_fma_f64 v[250:251], v[150:151], s[24:25], v[254:255]
	v_add_f64 v[12:13], v[220:221], v[12:13]
	v_fma_f64 v[220:221], v[164:165], s[44:45], v[36:37]
	v_add_f64 v[198:199], v[2:3], v[198:199]
	v_mul_f64 v[230:231], v[230:231], s[18:19]
	v_add_f64 v[38:39], v[192:193], v[38:39]
	v_mul_f64 v[192:193], v[210:211], s[46:47]
	v_fma_f64 v[52:53], v[88:89], s[6:7], -v[52:53]
	v_add_f64 v[200:201], v[200:201], v[228:229]
	v_mul_f64 v[176:177], v[176:177], s[24:25]
	v_fma_f64 v[228:229], v[168:169], s[14:15], v[50:51]
	v_add_f64 v[198:199], v[220:221], v[198:199]
	v_fma_f64 v[220:221], v[90:91], s[28:29], v[230:231]
	v_add_f64 v[250:251], v[250:251], v[12:13]
	v_fma_f64 v[12:13], v[166:167], s[12:13], v[192:193]
	v_mul_f64 v[254:255], v[188:189], s[34:35]
	v_add_f64 v[52:53], v[52:53], v[200:201]
	v_fma_f64 v[188:189], v[42:43], s[16:17], v[176:177]
	v_mul_f64 v[200:201], v[222:223], s[6:7]
	v_fma_f64 v[206:207], v[144:145], s[16:17], -v[206:207]
	v_add_f64 v[198:199], v[220:221], v[198:199]
	v_add_f64 v[14:15], v[228:229], v[14:15]
	;; [unrolled: 1-line block ×3, first 2 shown]
	v_fma_f64 v[38:39], v[82:83], s[30:31], v[254:255]
	v_mul_f64 v[228:229], v[186:187], s[38:39]
	v_add_f64 v[188:189], v[0:1], v[188:189]
	v_mul_f64 v[244:245], v[218:219], s[16:17]
	v_add_f64 v[52:53], v[206:207], v[52:53]
	v_fma_f64 v[206:207], v[150:151], s[22:23], v[200:201]
	v_fma_f64 v[32:33], v[162:163], s[44:45], v[32:33]
	v_mul_f64 v[218:219], v[218:219], s[12:13]
	v_fma_f64 v[186:187], v[160:161], s[30:31], -v[208:209]
	v_mul_f64 v[190:191], v[190:191], s[36:37]
	v_add_f64 v[38:39], v[38:39], v[188:189]
	v_fma_f64 v[50:51], v[168:169], s[46:47], v[50:51]
	v_fma_f64 v[192:193], v[166:167], s[12:13], -v[192:193]
	v_add_f64 v[188:189], v[206:207], v[198:199]
	v_fma_f64 v[198:199], v[88:89], s[18:19], v[228:229]
	v_add_f64 v[32:33], v[32:33], v[250:251]
	v_fma_f64 v[206:207], v[162:163], s[46:47], v[218:219]
	v_add_f64 v[52:53], v[186:187], v[52:53]
	v_mul_f64 v[194:195], v[194:195], s[14:15]
	v_fma_f64 v[48:49], v[148:149], s[24:25], v[48:49]
	v_fma_f64 v[36:37], v[164:165], s[34:35], v[36:37]
	v_add_f64 v[74:75], v[2:3], v[74:75]
	v_add_f64 v[38:39], v[198:199], v[38:39]
	v_fma_f64 v[198:199], v[144:145], s[6:7], v[190:191]
	v_add_f64 v[206:207], v[206:207], v[188:189]
	v_add_f64 v[188:189], v[50:51], v[32:33]
	;; [unrolled: 1-line block ×3, first 2 shown]
	v_fma_f64 v[32:33], v[160:161], s[12:13], v[194:195]
	v_add_f64 v[48:49], v[2:3], v[48:49]
	v_add_f64 v[52:53], v[154:155], v[246:247]
	;; [unrolled: 1-line block ×5, first 2 shown]
	v_mul_f64 v[104:105], v[82:83], s[12:13]
	v_mul_f64 v[106:107], v[42:43], s[6:7]
	v_add_f64 v[46:47], v[46:47], v[120:121]
	v_add_f64 v[36:37], v[36:37], v[48:49]
	;; [unrolled: 1-line block ×5, first 2 shown]
	v_fma_f64 v[32:33], v[90:91], s[38:39], v[230:231]
	s_waitcnt vmcnt(0)
	v_add_f64 v[68:69], v[72:73], v[54:55]
	buffer_load_dword v54, off, s[52:55], 0 offset:708 ; 4-byte Folded Reload
	buffer_load_dword v55, off, s[52:55], 0 offset:712 ; 4-byte Folded Reload
	v_add_f64 v[2:3], v[2:3], v[40:41]
	v_add_f64 v[40:41], v[104:105], -v[44:45]
	v_add_f64 v[16:17], v[106:107], -v[16:17]
	v_add_f64 v[48:49], v[48:49], v[52:53]
	v_add_f64 v[52:53], v[70:71], v[66:67]
	;; [unrolled: 1-line block ×4, first 2 shown]
	v_mul_f64 v[96:97], v[88:89], s[16:17]
	v_add_f64 v[2:3], v[46:47], v[2:3]
	v_mul_f64 v[242:243], v[222:223], s[26:27]
	v_add_f64 v[16:17], v[0:1], v[16:17]
	v_mul_f64 v[118:119], v[42:43], s[12:13]
	v_mul_f64 v[122:123], v[82:83], s[18:19]
	v_fma_f64 v[42:43], v[42:43], s[16:17], -v[176:177]
	v_add_f64 v[36:37], v[36:37], v[48:49]
	buffer_load_dword v48, off, s[52:55], 0 offset:692 ; 4-byte Folded Reload
	buffer_load_dword v49, off, s[52:55], 0 offset:696 ; 4-byte Folded Reload
	v_add_f64 v[46:47], v[96:97], -v[78:79]
	v_add_f64 v[70:71], v[184:185], v[242:243]
	v_add_f64 v[16:17], v[40:41], v[16:17]
	v_add_f64 v[18:19], v[118:119], -v[18:19]
	v_mul_f64 v[116:117], v[88:89], s[30:31]
	v_fma_f64 v[74:75], v[82:83], s[30:31], -v[254:255]
	v_add_f64 v[42:43], v[0:1], v[42:43]
	v_mul_f64 v[248:249], v[222:223], s[18:19]
	v_mul_f64 v[20:21], v[144:145], s[26:27]
	v_add_f64 v[36:37], v[70:71], v[36:37]
	v_add_f64 v[16:17], v[46:47], v[16:17]
	;; [unrolled: 1-line block ×3, first 2 shown]
	v_fma_f64 v[72:73], v[150:151], s[36:37], v[200:201]
	v_add_f64 v[18:19], v[116:117], -v[146:147]
	v_add_f64 v[42:43], v[74:75], v[42:43]
	v_mul_f64 v[134:135], v[160:161], s[26:27]
	v_mul_f64 v[234:235], v[160:161], s[16:17]
	v_fma_f64 v[66:67], v[162:163], s[14:15], v[218:219]
	v_fma_f64 v[58:59], v[144:145], s[6:7], -v[190:191]
	v_add_f64 v[40:41], v[20:21], -v[172:173]
	v_add_f64 v[32:33], v[72:73], v[32:33]
	v_add_f64 v[20:21], v[86:87], v[248:249]
	v_mul_f64 v[34:35], v[166:167], s[30:31]
	v_mul_f64 v[220:221], v[236:237], s[30:31]
	;; [unrolled: 1-line block ×6, first 2 shown]
	v_add_f64 v[32:33], v[66:67], v[32:33]
	v_fma_f64 v[66:67], v[160:161], s[12:13], -v[194:195]
	v_mov_b32_e32 v128, v130
	v_mov_b32_e32 v129, v131
	;; [unrolled: 1-line block ×3, first 2 shown]
	v_fma_f64 v[56:57], v[168:169], s[20:21], v[208:209]
	v_fma_f64 v[250:251], v[168:169], s[40:41], v[208:209]
	;; [unrolled: 1-line block ×3, first 2 shown]
	v_mov_b32_e32 v131, v133
	v_mov_b32_e32 v133, v131
	v_mov_b32_e32 v132, v130
	v_mov_b32_e32 v131, v129
	v_mov_b32_e32 v130, v128
	v_add_f64 v[148:149], v[250:251], v[206:207]
	v_add_f64 v[146:147], v[50:51], v[38:39]
	s_waitcnt vmcnt(2)
	v_add_f64 v[64:65], v[68:69], v[54:55]
	v_fma_f64 v[68:69], v[88:89], s[18:19], -v[228:229]
	v_add_f64 v[42:43], v[68:69], v[42:43]
	s_waitcnt vmcnt(0)
	v_add_f64 v[48:49], v[52:53], v[48:49]
	buffer_load_dword v52, off, s[52:55], 0 offset:676 ; 4-byte Folded Reload
	buffer_load_dword v53, off, s[52:55], 0 offset:680 ; 4-byte Folded Reload
	;; [unrolled: 1-line block ×4, first 2 shown]
	v_add_f64 v[42:43], v[58:59], v[42:43]
	v_add_f64 v[58:59], v[182:183], v[236:237]
	s_waitcnt vmcnt(2)
	v_add_f64 v[52:53], v[64:65], v[52:53]
	s_waitcnt vmcnt(0)
	v_add_f64 v[48:49], v[48:49], v[54:55]
	buffer_load_dword v54, off, s[52:55], 0 offset:644 ; 4-byte Folded Reload
	buffer_load_dword v55, off, s[52:55], 0 offset:648 ; 4-byte Folded Reload
	;; [unrolled: 1-line block ×4, first 2 shown]
	v_add_f64 v[64:65], v[180:181], v[244:245]
	v_add_f64 v[36:37], v[64:65], v[36:37]
	v_add_f64 v[64:65], v[122:123], -v[76:77]
	v_add_f64 v[0:1], v[64:65], v[0:1]
	v_add_f64 v[0:1], v[18:19], v[0:1]
	v_add_f64 v[18:19], v[234:235], -v[174:175]
	v_add_f64 v[0:1], v[40:41], v[0:1]
	v_add_f64 v[40:41], v[222:223], -v[170:171]
	v_add_f64 v[0:1], v[18:19], v[0:1]
	v_add_f64 v[18:19], v[58:59], v[36:37]
	s_waitcnt vmcnt(2)
	v_add_f64 v[52:53], v[52:53], v[54:55]
	s_waitcnt vmcnt(0)
	v_add_f64 v[48:49], v[48:49], v[30:31]
	buffer_load_dword v30, off, s[52:55], 0 offset:620 ; 4-byte Folded Reload
	buffer_load_dword v31, off, s[52:55], 0 offset:624 ; 4-byte Folded Reload
	v_fma_f64 v[54:55], v[166:167], s[26:27], -v[210:211]
	s_waitcnt vmcnt(0)
	v_add_f64 v[52:53], v[52:53], v[30:31]
	buffer_load_dword v30, off, s[52:55], 0 offset:612 ; 4-byte Folded Reload
	buffer_load_dword v31, off, s[52:55], 0 offset:616 ; 4-byte Folded Reload
	s_waitcnt vmcnt(0)
	v_add_f64 v[44:45], v[48:49], v[30:31]
	buffer_load_dword v30, off, s[52:55], 0 offset:604 ; 4-byte Folded Reload
	buffer_load_dword v31, off, s[52:55], 0 offset:608 ; 4-byte Folded Reload
	s_waitcnt vmcnt(0)
	v_add_f64 v[48:49], v[52:53], v[30:31]
	buffer_load_dword v52, off, s[52:55], 0 offset:596 ; 4-byte Folded Reload
	buffer_load_dword v53, off, s[52:55], 0 offset:600 ; 4-byte Folded Reload
	v_add_f64 v[30:31], v[80:81], v[98:99]
	v_add_f64 v[2:3], v[30:31], v[2:3]
	;; [unrolled: 1-line block ×3, first 2 shown]
	v_add_f64 v[20:21], v[134:135], -v[92:93]
	s_waitcnt vmcnt(0)
	v_add_f64 v[44:45], v[44:45], v[52:53]
	buffer_load_dword v52, off, s[52:55], 0 offset:588 ; 4-byte Folded Reload
	buffer_load_dword v53, off, s[52:55], 0 offset:592 ; 4-byte Folded Reload
	;; [unrolled: 1-line block ×6, first 2 shown]
	v_add_f64 v[44:45], v[44:45], v[232:233]
	v_add_f64 v[44:45], v[44:45], v[226:227]
	s_waitcnt vmcnt(4)
	v_add_f64 v[48:49], v[48:49], v[52:53]
	s_waitcnt vmcnt(2)
	v_add_f64 v[30:31], v[30:31], -v[84:85]
	s_waitcnt vmcnt(0)
	v_add_f64 v[46:47], v[94:95], v[46:47]
	v_add_f64 v[52:53], v[34:35], -v[152:153]
	v_add_f64 v[34:35], v[44:45], v[203:204]
	v_add_f64 v[48:49], v[48:49], v[224:225]
	;; [unrolled: 1-line block ×15, first 2 shown]
	buffer_load_dword v20, off, s[52:55], 0 offset:564 ; 4-byte Folded Reload
	buffer_load_dword v21, off, s[52:55], 0 offset:4 ; 4-byte Folded Reload
	v_add_f64 v[34:35], v[44:45], v[252:253]
	s_waitcnt vmcnt(1)
	v_mul_u32_u24_e32 v20, 52, v20
	s_waitcnt vmcnt(0)
	v_or_b32_e32 v20, v20, v21
	v_lshlrev_b32_e32 v20, 4, v20
	ds_write_b128 v20, v[34:37]
	ds_write_b128 v20, v[30:33] offset:64
	ds_write_b128 v20, v[16:19] offset:128
	;; [unrolled: 1-line block ×10, first 2 shown]
	buffer_load_dword v0, off, s[52:55], 0 offset:24 ; 4-byte Folded Reload
	buffer_load_dword v1, off, s[52:55], 0 offset:28 ; 4-byte Folded Reload
	buffer_load_dword v2, off, s[52:55], 0 offset:32 ; 4-byte Folded Reload
	buffer_load_dword v3, off, s[52:55], 0 offset:36 ; 4-byte Folded Reload
	s_waitcnt vmcnt(0)
	ds_write_b128 v20, v[0:3] offset:704
	buffer_load_dword v0, off, s[52:55], 0 offset:8 ; 4-byte Folded Reload
	buffer_load_dword v1, off, s[52:55], 0 offset:12 ; 4-byte Folded Reload
	;; [unrolled: 1-line block ×4, first 2 shown]
	s_waitcnt vmcnt(0)
	ds_write_b128 v20, v[0:3] offset:768
.LBB0_5:
	s_or_b64 exec, exec, s[48:49]
	s_waitcnt lgkmcnt(0)
	; wave barrier
	s_waitcnt lgkmcnt(0)
	ds_read_b128 v[44:47], v216
	ds_read_b128 v[56:59], v216 offset:9984
	ds_read_b128 v[40:43], v216 offset:832
	;; [unrolled: 1-line block ×23, first 2 shown]
	buffer_load_dword v92, off, s[52:55], 0 ; 4-byte Folded Reload
	s_add_u32 s6, s0, 0x4e00
	s_addc_u32 s7, s1, 0
	s_movk_i32 s13, 0x3000
	s_movk_i32 s12, 0x4000
	s_waitcnt vmcnt(0)
	v_lshlrev_b32_e32 v164, 4, v92
	global_load_dwordx4 v[144:147], v164, s[2:3] offset:800
	v_add_co_u32_e64 v165, s[0:1], s2, v164
	v_mov_b32_e32 v92, s3
	v_addc_co_u32_e64 v166, s[0:1], 0, v92, s[0:1]
	s_movk_i32 s0, 0x4f
	s_waitcnt vmcnt(0) lgkmcnt(14)
	v_mul_f64 v[93:94], v[58:59], v[146:147]
	v_fma_f64 v[156:157], v[56:57], v[144:145], -v[93:94]
	v_mul_f64 v[56:57], v[56:57], v[146:147]
	v_mov_b32_e32 v93, 4
	v_fma_f64 v[58:59], v[58:59], v[144:145], v[56:57]
	v_mul_f64 v[56:57], v[66:67], v[146:147]
	v_fma_f64 v[158:159], v[64:65], v[144:145], -v[56:57]
	v_mul_f64 v[56:57], v[64:65], v[146:147]
	v_fma_f64 v[64:65], v[66:67], v[144:145], v[56:57]
	buffer_load_dword v57, off, s[52:55], 0 offset:572 ; 4-byte Folded Reload
	s_waitcnt vmcnt(0)
	v_mul_lo_u16_sdwa v56, v57, s0 dst_sel:DWORD dst_unused:UNUSED_PAD src0_sel:BYTE_0 src1_sel:DWORD
	v_lshrrev_b16_e32 v56, 12, v56
	v_mul_lo_u16_e32 v56, 52, v56
	v_sub_u16_e32 v56, v57, v56
	v_lshlrev_b32_sdwa v169, v93, v56 dst_sel:DWORD dst_unused:UNUSED_PAD src0_sel:DWORD src1_sel:BYTE_0
	global_load_dwordx4 v[160:163], v169, s[2:3] offset:800
	s_waitcnt vmcnt(0)
	v_mul_f64 v[56:57], v[70:71], v[162:163]
	v_fma_f64 v[66:67], v[68:69], v[160:161], -v[56:57]
	v_mul_f64 v[56:57], v[68:69], v[162:163]
	buffer_store_dword v160, off, s[52:55], 0 offset:628 ; 4-byte Folded Spill
	s_nop 0
	buffer_store_dword v161, off, s[52:55], 0 offset:632 ; 4-byte Folded Spill
	buffer_store_dword v162, off, s[52:55], 0 offset:636 ; 4-byte Folded Spill
	;; [unrolled: 1-line block ×3, first 2 shown]
	v_fma_f64 v[68:69], v[70:71], v[160:161], v[56:57]
	buffer_load_dword v57, off, s[52:55], 0 offset:568 ; 4-byte Folded Reload
	s_waitcnt vmcnt(0)
	v_mul_lo_u16_sdwa v56, v57, s0 dst_sel:DWORD dst_unused:UNUSED_PAD src0_sel:BYTE_0 src1_sel:DWORD
	v_lshrrev_b16_e32 v56, 12, v56
	v_mul_lo_u16_e32 v56, 52, v56
	v_sub_u16_e32 v56, v57, v56
	v_lshlrev_b32_sdwa v170, v93, v56 dst_sel:DWORD dst_unused:UNUSED_PAD src0_sel:DWORD src1_sel:BYTE_0
	global_load_dwordx4 v[160:163], v170, s[2:3] offset:800
	s_movk_i32 s0, 0x4ec5
	s_waitcnt vmcnt(0)
	v_mul_f64 v[56:57], v[74:75], v[162:163]
	v_fma_f64 v[70:71], v[72:73], v[160:161], -v[56:57]
	v_mul_f64 v[56:57], v[72:73], v[162:163]
	buffer_store_dword v160, off, s[52:55], 0 offset:644 ; 4-byte Folded Spill
	s_nop 0
	buffer_store_dword v161, off, s[52:55], 0 offset:648 ; 4-byte Folded Spill
	buffer_store_dword v162, off, s[52:55], 0 offset:652 ; 4-byte Folded Spill
	;; [unrolled: 1-line block ×3, first 2 shown]
	buffer_load_dword v210, off, s[52:55], 0 offset:788 ; 4-byte Folded Reload
	v_fma_f64 v[72:73], v[74:75], v[160:161], v[56:57]
	s_waitcnt vmcnt(0)
	v_mul_u32_u24_sdwa v57, v210, s0 dst_sel:DWORD dst_unused:UNUSED_PAD src0_sel:WORD_0 src1_sel:DWORD
	v_lshrrev_b32_e32 v56, 20, v57
	v_mul_lo_u16_e32 v56, 52, v56
	v_sub_u16_e32 v56, v210, v56
	v_lshlrev_b32_e32 v171, 4, v56
	global_load_dwordx4 v[160:163], v171, s[2:3] offset:800
	s_waitcnt vmcnt(0)
	v_mul_f64 v[74:75], v[78:79], v[162:163]
	v_fma_f64 v[74:75], v[76:77], v[160:161], -v[74:75]
	v_mul_f64 v[76:77], v[76:77], v[162:163]
	buffer_store_dword v160, off, s[52:55], 0 offset:660 ; 4-byte Folded Spill
	s_nop 0
	buffer_store_dword v161, off, s[52:55], 0 offset:664 ; 4-byte Folded Spill
	buffer_store_dword v162, off, s[52:55], 0 offset:668 ; 4-byte Folded Spill
	buffer_store_dword v163, off, s[52:55], 0 offset:672 ; 4-byte Folded Spill
	buffer_load_dword v209, off, s[52:55], 0 offset:820 ; 4-byte Folded Reload
	v_fma_f64 v[76:77], v[78:79], v[160:161], v[76:77]
	s_waitcnt vmcnt(0)
	v_mul_u32_u24_sdwa v56, v209, s0 dst_sel:DWORD dst_unused:UNUSED_PAD src0_sel:WORD_0 src1_sel:DWORD
	v_lshrrev_b32_e32 v78, 20, v56
	v_mul_lo_u16_e32 v78, 52, v78
	v_sub_u16_e32 v78, v209, v78
	v_lshlrev_b32_e32 v172, 4, v78
	global_load_dwordx4 v[160:163], v172, s[2:3] offset:800
	s_waitcnt vmcnt(0) lgkmcnt(12)
	v_mul_f64 v[78:79], v[82:83], v[162:163]
	v_fma_f64 v[78:79], v[80:81], v[160:161], -v[78:79]
	v_mul_f64 v[80:81], v[80:81], v[162:163]
	buffer_store_dword v160, off, s[52:55], 0 offset:676 ; 4-byte Folded Spill
	s_nop 0
	buffer_store_dword v161, off, s[52:55], 0 offset:680 ; 4-byte Folded Spill
	buffer_store_dword v162, off, s[52:55], 0 offset:684 ; 4-byte Folded Spill
	buffer_store_dword v163, off, s[52:55], 0 offset:688 ; 4-byte Folded Spill
	buffer_load_dword v208, off, s[52:55], 0 offset:852 ; 4-byte Folded Reload
	v_fma_f64 v[80:81], v[82:83], v[160:161], v[80:81]
	s_waitcnt vmcnt(0)
	v_mul_u32_u24_sdwa v94, v208, s0 dst_sel:DWORD dst_unused:UNUSED_PAD src0_sel:WORD_0 src1_sel:DWORD
	v_lshrrev_b32_e32 v82, 20, v94
	v_mul_lo_u16_e32 v82, 52, v82
	v_sub_u16_e32 v82, v208, v82
	v_lshlrev_b32_e32 v173, 4, v82
	global_load_dwordx4 v[160:163], v173, s[2:3] offset:800
	s_waitcnt vmcnt(0) lgkmcnt(10)
	;; [unrolled: 18-line block ×3, first 2 shown]
	v_mul_f64 v[86:87], v[90:91], v[162:163]
	v_fma_f64 v[86:87], v[88:89], v[160:161], -v[86:87]
	v_mul_f64 v[88:89], v[88:89], v[162:163]
	buffer_store_dword v160, off, s[52:55], 0 offset:708 ; 4-byte Folded Spill
	s_nop 0
	buffer_store_dword v161, off, s[52:55], 0 offset:712 ; 4-byte Folded Spill
	buffer_store_dword v162, off, s[52:55], 0 offset:716 ; 4-byte Folded Spill
	;; [unrolled: 1-line block ×3, first 2 shown]
	v_fma_f64 v[88:89], v[90:91], v[160:161], v[88:89]
	v_mul_u32_u24_sdwa v90, v202, s0 dst_sel:DWORD dst_unused:UNUSED_PAD src0_sel:WORD_0 src1_sel:DWORD
	v_lshrrev_b32_e32 v90, 20, v90
	v_mul_lo_u16_e32 v90, 52, v90
	v_sub_u16_e32 v90, v202, v90
	v_lshlrev_b32_e32 v176, 4, v90
	global_load_dwordx4 v[160:163], v176, s[2:3] offset:800
	s_waitcnt vmcnt(0) lgkmcnt(6)
	v_mul_f64 v[90:91], v[150:151], v[162:163]
	v_fma_f64 v[90:91], v[148:149], v[160:161], -v[90:91]
	v_mul_f64 v[148:149], v[148:149], v[162:163]
	buffer_store_dword v160, off, s[52:55], 0 offset:724 ; 4-byte Folded Spill
	s_nop 0
	buffer_store_dword v161, off, s[52:55], 0 offset:728 ; 4-byte Folded Spill
	buffer_store_dword v162, off, s[52:55], 0 offset:732 ; 4-byte Folded Spill
	;; [unrolled: 1-line block ×3, first 2 shown]
	v_fma_f64 v[148:149], v[150:151], v[160:161], v[148:149]
	buffer_load_dword v150, off, s[52:55], 0 offset:580 ; 4-byte Folded Reload
	s_waitcnt vmcnt(0)
	v_mul_u32_u24_sdwa v95, v150, s0 dst_sel:DWORD dst_unused:UNUSED_PAD src0_sel:WORD_0 src1_sel:DWORD
	v_lshrrev_b32_e32 v95, 20, v95
	v_mul_lo_u16_e32 v95, 52, v95
	v_sub_u16_e32 v95, v150, v95
	v_lshlrev_b32_e32 v175, 4, v95
	global_load_dwordx4 v[160:163], v175, s[2:3] offset:800
	s_waitcnt vmcnt(0) lgkmcnt(4)
	v_mul_f64 v[150:151], v[154:155], v[162:163]
	v_fma_f64 v[150:151], v[152:153], v[160:161], -v[150:151]
	v_mul_f64 v[152:153], v[152:153], v[162:163]
	buffer_store_dword v160, off, s[52:55], 0 offset:740 ; 4-byte Folded Spill
	s_nop 0
	buffer_store_dword v161, off, s[52:55], 0 offset:744 ; 4-byte Folded Spill
	buffer_store_dword v162, off, s[52:55], 0 offset:748 ; 4-byte Folded Spill
	;; [unrolled: 1-line block ×3, first 2 shown]
	v_fma_f64 v[152:153], v[154:155], v[160:161], v[152:153]
	buffer_load_dword v154, off, s[52:55], 0 offset:584 ; 4-byte Folded Reload
	s_waitcnt vmcnt(0)
	v_mul_u32_u24_sdwa v95, v154, s0 dst_sel:DWORD dst_unused:UNUSED_PAD src0_sel:WORD_0 src1_sel:DWORD
	v_lshrrev_b32_e32 v95, 20, v95
	v_mul_lo_u16_e32 v95, 52, v95
	v_sub_u16_e32 v95, v154, v95
	v_lshlrev_b32_e32 v95, 4, v95
	global_load_dwordx4 v[160:163], v95, s[2:3] offset:800
	s_waitcnt vmcnt(0) lgkmcnt(2)
	v_mul_f64 v[154:155], v[54:55], v[162:163]
	v_fma_f64 v[154:155], v[52:53], v[160:161], -v[154:155]
	v_mul_f64 v[52:53], v[52:53], v[162:163]
	buffer_store_dword v160, off, s[52:55], 0 offset:756 ; 4-byte Folded Spill
	s_nop 0
	buffer_store_dword v161, off, s[52:55], 0 offset:760 ; 4-byte Folded Spill
	buffer_store_dword v162, off, s[52:55], 0 offset:764 ; 4-byte Folded Spill
	;; [unrolled: 1-line block ×3, first 2 shown]
	v_fma_f64 v[160:161], v[54:55], v[160:161], v[52:53]
	buffer_load_dword v53, off, s[52:55], 0 offset:576 ; 4-byte Folded Reload
	v_add_f64 v[54:55], v[42:43], -v[64:65]
	v_add_f64 v[64:65], v[36:37], -v[66:67]
	;; [unrolled: 1-line block ×19, first 2 shown]
	v_fma_f64 v[32:33], v[32:33], 2.0, -v[68:69]
	v_fma_f64 v[34:35], v[34:35], 2.0, -v[70:71]
	v_fma_f64 v[28:29], v[28:29], 2.0, -v[72:73]
	v_fma_f64 v[30:31], v[30:31], 2.0, -v[74:75]
	v_fma_f64 v[24:25], v[24:25], 2.0, -v[76:77]
	v_fma_f64 v[26:27], v[26:27], 2.0, -v[78:79]
	v_fma_f64 v[20:21], v[20:21], 2.0, -v[80:81]
	v_fma_f64 v[22:23], v[22:23], 2.0, -v[82:83]
	v_fma_f64 v[16:17], v[16:17], 2.0, -v[84:85]
	v_fma_f64 v[18:19], v[18:19], 2.0, -v[86:87]
	v_fma_f64 v[12:13], v[12:13], 2.0, -v[88:89]
	v_fma_f64 v[14:15], v[14:15], 2.0, -v[90:91]
	v_fma_f64 v[8:9], v[8:9], 2.0, -v[148:149]
	v_fma_f64 v[10:11], v[10:11], 2.0, -v[150:151]
	v_fma_f64 v[4:5], v[4:5], 2.0, -v[152:153]
	v_fma_f64 v[6:7], v[6:7], 2.0, -v[154:155]
	v_fma_f64 v[42:43], v[42:43], 2.0, -v[54:55]
	v_fma_f64 v[36:37], v[36:37], 2.0, -v[64:65]
	v_fma_f64 v[38:39], v[38:39], 2.0, -v[66:67]
	s_waitcnt vmcnt(0)
	v_mul_u32_u24_sdwa v52, v53, s0 dst_sel:DWORD dst_unused:UNUSED_PAD src0_sel:WORD_0 src1_sel:DWORD
	v_lshrrev_b32_e32 v52, 20, v52
	v_mul_lo_u16_e32 v52, 52, v52
	v_sub_u16_e32 v52, v53, v52
	v_lshlrev_b32_e32 v177, 4, v52
	global_load_dwordx4 v[178:181], v177, s[2:3] offset:800
	s_waitcnt vmcnt(0) lgkmcnt(0)
	v_mul_f64 v[52:53], v[50:51], v[180:181]
	v_fma_f64 v[162:163], v[48:49], v[178:179], -v[52:53]
	v_mul_f64 v[48:49], v[48:49], v[180:181]
	buffer_store_dword v178, off, s[52:55], 0 offset:772 ; 4-byte Folded Spill
	s_nop 0
	buffer_store_dword v179, off, s[52:55], 0 offset:776 ; 4-byte Folded Spill
	buffer_store_dword v180, off, s[52:55], 0 offset:780 ; 4-byte Folded Spill
	;; [unrolled: 1-line block ×3, first 2 shown]
	v_add_f64 v[52:53], v[40:41], -v[158:159]
	s_waitcnt lgkmcnt(0)
	; wave barrier
	v_fma_f64 v[40:41], v[40:41], 2.0, -v[52:53]
	v_fma_f64 v[167:168], v[50:51], v[178:179], v[48:49]
	v_add_f64 v[48:49], v[44:45], -v[156:157]
	v_add_f64 v[50:51], v[46:47], -v[58:59]
	;; [unrolled: 1-line block ×4, first 2 shown]
	v_fma_f64 v[44:45], v[44:45], 2.0, -v[48:49]
	v_fma_f64 v[46:47], v[46:47], 2.0, -v[50:51]
	;; [unrolled: 1-line block ×3, first 2 shown]
	ds_write_b128 v216, v[44:47]
	ds_write_b128 v216, v[48:51] offset:832
	ds_write_b128 v216, v[40:43] offset:1664
	;; [unrolled: 1-line block ×4, first 2 shown]
	v_fma_f64 v[2:3], v[2:3], 2.0, -v[158:159]
	buffer_store_dword v169, off, s[52:55], 0 offset:568 ; 4-byte Folded Spill
	ds_write_b128 v169, v[64:67] offset:4160
	ds_write_b128 v170, v[32:35] offset:4992
	buffer_store_dword v170, off, s[52:55], 0 offset:572 ; 4-byte Folded Spill
	ds_write_b128 v170, v[68:71] offset:5824
	ds_write_b128 v171, v[28:31] offset:6656
	;; [unrolled: 3-line block ×9, first 2 shown]
	buffer_store_dword v177, off, s[52:55], 0 offset:620 ; 4-byte Folded Spill
	ds_write_b128 v177, v[156:159] offset:19136
	s_waitcnt lgkmcnt(0)
	; wave barrier
	s_waitcnt lgkmcnt(0)
	ds_read_b128 v[28:31], v216
	ds_read_b128 v[46:49], v216 offset:6656
	ds_read_b128 v[50:53], v216 offset:13312
	;; [unrolled: 1-line block ×23, first 2 shown]
	buffer_load_dword v44, off, s[52:55], 0 offset:804 ; 4-byte Folded Reload
	s_waitcnt vmcnt(0)
	v_lshlrev_b32_e32 v44, 4, v44
	global_load_dwordx4 v[192:195], v44, s[2:3] offset:1648
	global_load_dwordx4 v[196:199], v44, s[2:3] offset:1632
	buffer_load_dword v230, off, s[52:55], 0 offset:1148 ; 4-byte Folded Reload
	s_waitcnt vmcnt(0)
	global_load_dwordx4 v[188:191], v230, s[2:3] offset:1648
	global_load_dwordx4 v[200:203], v230, s[2:3] offset:1632
	s_waitcnt lgkmcnt(14)
	v_mul_f64 v[44:45], v[48:49], v[198:199]
	s_mov_b32 s3, 0xbfebb67a
	v_fma_f64 v[44:45], v[46:47], v[196:197], -v[44:45]
	v_mul_f64 v[46:47], v[46:47], v[198:199]
	v_fma_f64 v[160:161], v[48:49], v[196:197], v[46:47]
	v_mul_f64 v[46:47], v[52:53], v[194:195]
	v_fma_f64 v[158:159], v[50:51], v[192:193], -v[46:47]
	v_mul_f64 v[46:47], v[50:51], v[194:195]
	v_fma_f64 v[162:163], v[52:53], v[192:193], v[46:47]
	s_waitcnt vmcnt(0)
	v_mul_f64 v[48:49], v[64:65], v[202:203]
	v_mul_f64 v[46:47], v[66:67], v[202:203]
	v_fma_f64 v[150:151], v[66:67], v[200:201], v[48:49]
	v_mul_f64 v[48:49], v[70:71], v[190:191]
	v_fma_f64 v[46:47], v[64:65], v[200:201], -v[46:47]
	v_fma_f64 v[152:153], v[68:69], v[188:189], -v[48:49]
	v_mul_f64 v[48:49], v[68:69], v[190:191]
	v_fma_f64 v[156:157], v[70:71], v[188:189], v[48:49]
	v_mul_f64 v[48:49], v[74:75], v[198:199]
	v_fma_f64 v[84:85], v[72:73], v[196:197], -v[48:49]
	v_mul_f64 v[48:49], v[72:73], v[198:199]
	v_fma_f64 v[86:87], v[74:75], v[196:197], v[48:49]
	v_mul_f64 v[48:49], v[78:79], v[194:195]
	v_fma_f64 v[88:89], v[76:77], v[192:193], -v[48:49]
	v_mul_f64 v[48:49], v[76:77], v[194:195]
	v_fma_f64 v[90:91], v[78:79], v[192:193], v[48:49]
	s_waitcnt lgkmcnt(13)
	v_mul_f64 v[48:49], v[82:83], v[202:203]
	v_fma_f64 v[66:67], v[80:81], v[200:201], -v[48:49]
	v_mul_f64 v[48:49], v[80:81], v[202:203]
	v_fma_f64 v[70:71], v[82:83], v[200:201], v[48:49]
	s_waitcnt lgkmcnt(12)
	v_mul_f64 v[48:49], v[169:170], v[190:191]
	v_fma_f64 v[72:73], v[167:168], v[188:189], -v[48:49]
	v_mul_f64 v[48:49], v[167:168], v[190:191]
	v_fma_f64 v[74:75], v[169:170], v[188:189], v[48:49]
	v_lshrrev_b32_e32 v48, 21, v57
	v_mul_lo_u16_e32 v48, 0x68, v48
	v_sub_u16_e32 v167, v210, v48
	v_lshlrev_b16_e32 v48, 5, v167
	v_add_co_u32_e64 v48, s[0:1], s2, v48
	v_addc_co_u32_e64 v49, s[0:1], 0, v92, s[0:1]
	global_load_dwordx4 v[50:53], v[48:49], off offset:1648
	global_load_dwordx4 v[78:81], v[48:49], off offset:1632
	s_waitcnt vmcnt(0) lgkmcnt(10)
	v_mul_f64 v[48:49], v[173:174], v[80:81]
	v_fma_f64 v[76:77], v[171:172], v[78:79], -v[48:49]
	v_mul_f64 v[48:49], v[171:172], v[80:81]
	buffer_store_dword v78, off, s[52:55], 0 offset:804 ; 4-byte Folded Spill
	s_nop 0
	buffer_store_dword v79, off, s[52:55], 0 offset:808 ; 4-byte Folded Spill
	buffer_store_dword v80, off, s[52:55], 0 offset:812 ; 4-byte Folded Spill
	;; [unrolled: 1-line block ×3, first 2 shown]
	v_fma_f64 v[78:79], v[173:174], v[78:79], v[48:49]
	s_waitcnt lgkmcnt(9)
	v_mul_f64 v[48:49], v[177:178], v[52:53]
	v_fma_f64 v[80:81], v[175:176], v[50:51], -v[48:49]
	v_mul_f64 v[48:49], v[175:176], v[52:53]
	buffer_store_dword v50, off, s[52:55], 0 offset:788 ; 4-byte Folded Spill
	s_nop 0
	buffer_store_dword v51, off, s[52:55], 0 offset:792 ; 4-byte Folded Spill
	buffer_store_dword v52, off, s[52:55], 0 offset:796 ; 4-byte Folded Spill
	buffer_store_dword v53, off, s[52:55], 0 offset:800 ; 4-byte Folded Spill
	v_fma_f64 v[82:83], v[177:178], v[50:51], v[48:49]
	v_lshrrev_b32_e32 v48, 21, v56
	v_mul_lo_u16_e32 v48, 0x68, v48
	v_sub_u16_e32 v168, v209, v48
	v_lshlrev_b16_e32 v48, 5, v168
	v_add_co_u32_e64 v48, s[0:1], s2, v48
	v_addc_co_u32_e64 v49, s[0:1], 0, v92, s[0:1]
	global_load_dwordx4 v[50:53], v[48:49], off offset:1648
	global_load_dwordx4 v[169:172], v[48:49], off offset:1632
	s_waitcnt vmcnt(0) lgkmcnt(7)
	v_mul_f64 v[48:49], v[181:182], v[171:172]
	v_fma_f64 v[56:57], v[179:180], v[169:170], -v[48:49]
	v_mul_f64 v[48:49], v[179:180], v[171:172]
	buffer_store_dword v169, off, s[52:55], 0 offset:836 ; 4-byte Folded Spill
	s_nop 0
	buffer_store_dword v170, off, s[52:55], 0 offset:840 ; 4-byte Folded Spill
	buffer_store_dword v171, off, s[52:55], 0 offset:844 ; 4-byte Folded Spill
	;; [unrolled: 1-line block ×3, first 2 shown]
	v_fma_f64 v[64:65], v[181:182], v[169:170], v[48:49]
	s_waitcnt lgkmcnt(6)
	v_mul_f64 v[48:49], v[185:186], v[52:53]
	v_fma_f64 v[58:59], v[183:184], v[50:51], -v[48:49]
	v_mul_f64 v[48:49], v[183:184], v[52:53]
	buffer_store_dword v50, off, s[52:55], 0 offset:820 ; 4-byte Folded Spill
	s_nop 0
	buffer_store_dword v51, off, s[52:55], 0 offset:824 ; 4-byte Folded Spill
	buffer_store_dword v52, off, s[52:55], 0 offset:828 ; 4-byte Folded Spill
	;; [unrolled: 1-line block ×3, first 2 shown]
	v_fma_f64 v[68:69], v[185:186], v[50:51], v[48:49]
	v_lshrrev_b32_e32 v48, 21, v94
	v_mul_lo_u16_e32 v48, 0x68, v48
	v_sub_u16_e32 v169, v208, v48
	v_lshlrev_b16_e32 v48, 5, v169
	v_add_co_u32_e64 v48, s[0:1], s2, v48
	v_addc_co_u32_e64 v49, s[0:1], 0, v92, s[0:1]
	global_load_dwordx4 v[170:173], v[48:49], off offset:1648
	global_load_dwordx4 v[52:55], v[48:49], off offset:1632
	s_waitcnt vmcnt(0) lgkmcnt(4)
	v_mul_f64 v[48:49], v[206:207], v[54:55]
	v_mul_f64 v[50:51], v[204:205], v[54:55]
	v_fma_f64 v[48:49], v[204:205], v[52:53], -v[48:49]
	buffer_store_dword v52, off, s[52:55], 0 offset:868 ; 4-byte Folded Spill
	s_nop 0
	buffer_store_dword v53, off, s[52:55], 0 offset:872 ; 4-byte Folded Spill
	buffer_store_dword v54, off, s[52:55], 0 offset:876 ; 4-byte Folded Spill
	;; [unrolled: 1-line block ×3, first 2 shown]
	v_fma_f64 v[52:53], v[206:207], v[52:53], v[50:51]
	s_waitcnt lgkmcnt(3)
	v_mul_f64 v[50:51], v[42:43], v[172:173]
	v_fma_f64 v[50:51], v[40:41], v[170:171], -v[50:51]
	v_mul_f64 v[40:41], v[40:41], v[172:173]
	buffer_store_dword v170, off, s[52:55], 0 offset:852 ; 4-byte Folded Spill
	s_nop 0
	buffer_store_dword v171, off, s[52:55], 0 offset:856 ; 4-byte Folded Spill
	buffer_store_dword v172, off, s[52:55], 0 offset:860 ; 4-byte Folded Spill
	;; [unrolled: 1-line block ×3, first 2 shown]
	v_fma_f64 v[54:55], v[42:43], v[170:171], v[40:41]
	v_lshrrev_b32_e32 v40, 21, v93
	v_mul_lo_u16_e32 v40, 0x68, v40
	v_sub_u16_e32 v170, v187, v40
	v_lshlrev_b16_e32 v40, 5, v170
	v_add_co_u32_e64 v40, s[0:1], s2, v40
	v_addc_co_u32_e64 v41, s[0:1], 0, v92, s[0:1]
	global_load_dwordx4 v[171:174], v[40:41], off offset:1648
	global_load_dwordx4 v[175:178], v[40:41], off offset:1632
	s_mov_b32 s0, 0xe8584caa
	s_mov_b32 s1, 0x3febb67a
	;; [unrolled: 1-line block ×3, first 2 shown]
	v_add_f64 v[42:43], v[46:47], v[152:153]
	s_waitcnt vmcnt(0) lgkmcnt(1)
	v_mul_f64 v[40:41], v[38:39], v[177:178]
	v_fma_f64 v[92:93], v[36:37], v[175:176], -v[40:41]
	v_mul_f64 v[36:37], v[36:37], v[177:178]
	buffer_store_dword v175, off, s[52:55], 0 offset:900 ; 4-byte Folded Spill
	s_nop 0
	buffer_store_dword v176, off, s[52:55], 0 offset:904 ; 4-byte Folded Spill
	buffer_store_dword v177, off, s[52:55], 0 offset:908 ; 4-byte Folded Spill
	;; [unrolled: 1-line block ×3, first 2 shown]
	v_add_f64 v[40:41], v[44:45], -v[158:159]
	v_fma_f64 v[148:149], v[38:39], v[175:176], v[36:37]
	s_waitcnt lgkmcnt(0)
	v_mul_f64 v[36:37], v[34:35], v[173:174]
	v_add_f64 v[38:39], v[160:161], v[162:163]
	v_fma_f64 v[94:95], v[32:33], v[171:172], -v[36:37]
	v_mul_f64 v[32:33], v[32:33], v[173:174]
	buffer_store_dword v171, off, s[52:55], 0 offset:884 ; 4-byte Folded Spill
	s_nop 0
	buffer_store_dword v172, off, s[52:55], 0 offset:888 ; 4-byte Folded Spill
	buffer_store_dword v173, off, s[52:55], 0 offset:892 ; 4-byte Folded Spill
	;; [unrolled: 1-line block ×3, first 2 shown]
	s_waitcnt lgkmcnt(0)
	; wave barrier
	v_fma_f64 v[154:155], v[34:35], v[171:172], v[32:33]
	v_add_f64 v[34:35], v[44:45], v[158:159]
	v_add_f64 v[32:33], v[28:29], v[44:45]
	v_fma_f64 v[28:29], v[34:35], -0.5, v[28:29]
	v_add_f64 v[34:35], v[160:161], -v[162:163]
	v_add_f64 v[32:33], v[32:33], v[158:159]
	v_fma_f64 v[36:37], v[34:35], s[0:1], v[28:29]
	v_fma_f64 v[28:29], v[34:35], s[2:3], v[28:29]
	v_add_f64 v[34:35], v[30:31], v[160:161]
	v_fma_f64 v[30:31], v[38:39], -0.5, v[30:31]
	v_add_f64 v[34:35], v[34:35], v[162:163]
	v_fma_f64 v[38:39], v[40:41], s[2:3], v[30:31]
	v_fma_f64 v[30:31], v[40:41], s[0:1], v[30:31]
	v_add_f64 v[40:41], v[24:25], v[46:47]
	v_fma_f64 v[24:25], v[42:43], -0.5, v[24:25]
	v_add_f64 v[42:43], v[150:151], -v[156:157]
	v_add_f64 v[40:41], v[40:41], v[152:153]
	v_fma_f64 v[44:45], v[42:43], s[0:1], v[24:25]
	v_fma_f64 v[24:25], v[42:43], s[2:3], v[24:25]
	v_add_f64 v[42:43], v[26:27], v[150:151]
	v_add_f64 v[150:151], v[150:151], v[156:157]
	;; [unrolled: 1-line block ×3, first 2 shown]
	v_fma_f64 v[26:27], v[150:151], -0.5, v[26:27]
	v_add_f64 v[150:151], v[46:47], -v[152:153]
	v_add_f64 v[152:153], v[84:85], v[88:89]
	v_add_f64 v[156:157], v[86:87], -v[90:91]
	v_fma_f64 v[46:47], v[150:151], s[2:3], v[26:27]
	v_fma_f64 v[152:153], v[152:153], -0.5, v[20:21]
	v_fma_f64 v[26:27], v[150:151], s[0:1], v[26:27]
	v_add_f64 v[150:151], v[20:21], v[84:85]
	v_add_f64 v[84:85], v[84:85], -v[88:89]
	v_fma_f64 v[20:21], v[156:157], s[0:1], v[152:153]
	v_fma_f64 v[156:157], v[156:157], s[2:3], v[152:153]
	v_add_f64 v[152:153], v[22:23], v[86:87]
	v_add_f64 v[86:87], v[86:87], v[90:91]
	;; [unrolled: 1-line block ×3, first 2 shown]
	v_add_f64 v[88:89], v[70:71], -v[74:75]
	v_add_f64 v[152:153], v[152:153], v[90:91]
	v_fma_f64 v[86:87], v[86:87], -0.5, v[22:23]
	v_fma_f64 v[22:23], v[84:85], s[2:3], v[86:87]
	v_fma_f64 v[158:159], v[84:85], s[0:1], v[86:87]
	v_add_f64 v[86:87], v[66:67], v[72:73]
	v_add_f64 v[84:85], v[16:17], v[66:67]
	v_add_f64 v[66:67], v[66:67], -v[72:73]
	v_fma_f64 v[86:87], v[86:87], -0.5, v[16:17]
	v_add_f64 v[84:85], v[84:85], v[72:73]
	v_add_f64 v[72:73], v[78:79], -v[82:83]
	v_fma_f64 v[16:17], v[88:89], s[0:1], v[86:87]
	v_fma_f64 v[88:89], v[88:89], s[2:3], v[86:87]
	v_add_f64 v[86:87], v[18:19], v[70:71]
	v_add_f64 v[70:71], v[70:71], v[74:75]
	v_add_f64 v[86:87], v[86:87], v[74:75]
	v_fma_f64 v[70:71], v[70:71], -0.5, v[18:19]
	v_fma_f64 v[18:19], v[66:67], s[2:3], v[70:71]
	v_fma_f64 v[90:91], v[66:67], s[0:1], v[70:71]
	v_add_f64 v[66:67], v[12:13], v[76:77]
	ds_write_b128 v216, v[32:35]
	ds_write_b128 v216, v[36:39] offset:1664
	ds_write_b128 v216, v[28:31] offset:3328
	;; [unrolled: 1-line block ×11, first 2 shown]
	v_lshlrev_b32_e32 v16, 4, v167
	v_add_f64 v[70:71], v[66:67], v[80:81]
	v_add_f64 v[66:67], v[76:77], v[80:81]
	v_add_f64 v[76:77], v[76:77], -v[80:81]
	v_add_f64 v[80:81], v[64:65], -v[68:69]
	v_fma_f64 v[66:67], v[66:67], -0.5, v[12:13]
	v_fma_f64 v[12:13], v[72:73], s[0:1], v[66:67]
	v_fma_f64 v[74:75], v[72:73], s[2:3], v[66:67]
	v_add_f64 v[66:67], v[14:15], v[78:79]
	v_add_f64 v[72:73], v[66:67], v[82:83]
	v_add_f64 v[66:67], v[78:79], v[82:83]
	v_fma_f64 v[66:67], v[66:67], -0.5, v[14:15]
	v_fma_f64 v[14:15], v[76:77], s[2:3], v[66:67]
	v_fma_f64 v[76:77], v[76:77], s[0:1], v[66:67]
	v_add_f64 v[66:67], v[8:9], v[56:57]
	ds_write_b128 v16, v[70:73] offset:9984
	ds_write_b128 v16, v[12:15] offset:11648
	v_lshlrev_b32_e32 v12, 4, v168
	buffer_store_dword v16, off, s[52:55], 0 offset:916 ; 4-byte Folded Spill
	v_add_f64 v[78:79], v[66:67], v[58:59]
	v_add_f64 v[66:67], v[56:57], v[58:59]
	v_add_f64 v[56:57], v[56:57], -v[58:59]
	v_add_f64 v[58:59], v[48:49], v[50:51]
	ds_write_b128 v16, v[74:77] offset:13312
	v_fma_f64 v[66:67], v[66:67], -0.5, v[8:9]
	v_fma_f64 v[58:59], v[58:59], -0.5, v[4:5]
	v_fma_f64 v[8:9], v[80:81], s[0:1], v[66:67]
	v_fma_f64 v[66:67], v[80:81], s[2:3], v[66:67]
	v_add_f64 v[80:81], v[10:11], v[64:65]
	v_add_f64 v[64:65], v[64:65], v[68:69]
	;; [unrolled: 1-line block ×3, first 2 shown]
	v_fma_f64 v[64:65], v[64:65], -0.5, v[10:11]
	v_fma_f64 v[10:11], v[56:57], s[2:3], v[64:65]
	v_fma_f64 v[68:69], v[56:57], s[0:1], v[64:65]
	v_add_f64 v[64:65], v[52:53], -v[54:55]
	v_add_f64 v[56:57], v[4:5], v[48:49]
	v_add_f64 v[48:49], v[48:49], -v[50:51]
	ds_write_b128 v12, v[78:81] offset:9984
	ds_write_b128 v12, v[8:11] offset:11648
	v_lshlrev_b32_e32 v8, 4, v169
	buffer_store_dword v12, off, s[52:55], 0 offset:920 ; 4-byte Folded Spill
	v_fma_f64 v[4:5], v[64:65], s[0:1], v[58:59]
	v_fma_f64 v[160:161], v[64:65], s[2:3], v[58:59]
	v_add_f64 v[58:59], v[6:7], v[52:53]
	v_add_f64 v[52:53], v[52:53], v[54:55]
	;; [unrolled: 1-line block ×4, first 2 shown]
	v_add_f64 v[64:65], v[92:93], -v[94:95]
	ds_write_b128 v12, v[66:69] offset:13312
	v_add_f64 v[58:59], v[58:59], v[54:55]
	v_fma_f64 v[52:53], v[52:53], -0.5, v[6:7]
	v_add_f64 v[54:55], v[148:149], v[154:155]
	v_fma_f64 v[50:51], v[50:51], -0.5, v[0:1]
	v_fma_f64 v[6:7], v[48:49], s[2:3], v[52:53]
	v_fma_f64 v[162:163], v[48:49], s[0:1], v[52:53]
	v_add_f64 v[52:53], v[148:149], -v[154:155]
	v_add_f64 v[48:49], v[0:1], v[92:93]
	v_fma_f64 v[54:55], v[54:55], -0.5, v[2:3]
	ds_write_b128 v8, v[56:59] offset:14976
	ds_write_b128 v8, v[4:7] offset:16640
	v_lshlrev_b32_e32 v4, 4, v170
	buffer_store_dword v8, off, s[52:55], 0 offset:924 ; 4-byte Folded Spill
	v_fma_f64 v[0:1], v[52:53], s[0:1], v[50:51]
	v_fma_f64 v[52:53], v[52:53], s[2:3], v[50:51]
	v_add_f64 v[50:51], v[2:3], v[148:149]
	v_add_f64 v[48:49], v[48:49], v[94:95]
	v_fma_f64 v[2:3], v[64:65], s[2:3], v[54:55]
	v_fma_f64 v[54:55], v[64:65], s[0:1], v[54:55]
	s_movk_i32 s2, 0x1000
	v_add_co_u32_e64 v152, s[0:1], s2, v165
	v_addc_co_u32_e64 v153, s[0:1], 0, v166, s[0:1]
	v_add_f64 v[50:51], v[50:51], v[154:155]
	ds_write_b128 v8, v[160:163] offset:18304
	ds_write_b128 v4, v[48:51] offset:14976
	ds_write_b128 v4, v[0:3] offset:16640
	buffer_store_dword v4, off, s[52:55], 0 offset:928 ; 4-byte Folded Spill
	ds_write_b128 v4, v[52:55] offset:18304
	s_waitcnt lgkmcnt(0)
	; wave barrier
	s_waitcnt lgkmcnt(0)
	ds_read_b128 v[52:55], v216
	ds_read_b128 v[0:3], v216 offset:9984
	ds_read_b128 v[48:51], v216 offset:832
	;; [unrolled: 1-line block ×23, first 2 shown]
	global_load_dwordx4 v[240:243], v[152:153], off offset:864
	global_load_dwordx4 v[244:247], v[152:153], off offset:1696
	;; [unrolled: 1-line block ×4, first 2 shown]
	s_movk_i32 s3, 0x2000
	v_add_co_u32_e64 v160, s[0:1], s3, v165
	v_addc_co_u32_e64 v161, s[0:1], 0, v166, s[0:1]
	s_waitcnt vmcnt(3) lgkmcnt(14)
	v_mul_f64 v[154:155], v[2:3], v[242:243]
	v_fma_f64 v[154:155], v[0:1], v[240:241], -v[154:155]
	v_mul_f64 v[0:1], v[0:1], v[242:243]
	v_fma_f64 v[156:157], v[2:3], v[240:241], v[0:1]
	s_waitcnt vmcnt(2)
	v_mul_f64 v[0:1], v[6:7], v[246:247]
	v_fma_f64 v[158:159], v[4:5], v[244:245], -v[0:1]
	v_mul_f64 v[0:1], v[4:5], v[246:247]
	v_fma_f64 v[162:163], v[6:7], v[244:245], v[0:1]
	s_waitcnt vmcnt(1)
	;; [unrolled: 5-line block ×3, first 2 shown]
	v_mul_f64 v[0:1], v[70:71], v[254:255]
	v_add_f64 v[66:67], v[50:51], -v[162:163]
	v_fma_f64 v[152:153], v[68:69], v[252:253], -v[0:1]
	v_mul_f64 v[0:1], v[68:69], v[254:255]
	v_add_f64 v[68:69], v[44:45], -v[167:168]
	v_fma_f64 v[50:51], v[50:51], 2.0, -v[66:67]
	v_fma_f64 v[171:172], v[70:71], v[252:253], v[0:1]
	global_load_dwordx4 v[0:3], v[160:161], off offset:96
	v_add_f64 v[70:71], v[46:47], -v[169:170]
	v_fma_f64 v[44:45], v[44:45], 2.0, -v[68:69]
	v_fma_f64 v[46:47], v[46:47], 2.0, -v[70:71]
	s_waitcnt vmcnt(0)
	v_mul_f64 v[4:5], v[74:75], v[2:3]
	v_fma_f64 v[173:174], v[72:73], v[0:1], -v[4:5]
	v_mul_f64 v[4:5], v[72:73], v[2:3]
	v_add_f64 v[72:73], v[40:41], -v[152:153]
	v_fma_f64 v[175:176], v[74:75], v[0:1], v[4:5]
	global_load_dwordx4 v[4:7], v[160:161], off offset:928
	v_add_f64 v[74:75], v[42:43], -v[171:172]
	v_fma_f64 v[40:41], v[40:41], 2.0, -v[72:73]
	s_waitcnt lgkmcnt(0)
	; wave barrier
	s_waitcnt lgkmcnt(0)
	v_fma_f64 v[42:43], v[42:43], 2.0, -v[74:75]
	s_waitcnt vmcnt(0)
	v_mul_f64 v[64:65], v[78:79], v[6:7]
	v_fma_f64 v[177:178], v[76:77], v[4:5], -v[64:65]
	v_mul_f64 v[64:65], v[76:77], v[6:7]
	v_add_f64 v[76:77], v[36:37], -v[173:174]
	v_fma_f64 v[179:180], v[78:79], v[4:5], v[64:65]
	v_mul_f64 v[64:65], v[82:83], v[242:243]
	v_add_f64 v[78:79], v[38:39], -v[175:176]
	v_fma_f64 v[36:37], v[36:37], 2.0, -v[76:77]
	v_fma_f64 v[181:182], v[80:81], v[240:241], -v[64:65]
	v_mul_f64 v[64:65], v[80:81], v[242:243]
	v_add_f64 v[80:81], v[32:33], -v[177:178]
	v_fma_f64 v[38:39], v[38:39], 2.0, -v[78:79]
	v_fma_f64 v[183:184], v[82:83], v[240:241], v[64:65]
	v_mul_f64 v[64:65], v[86:87], v[246:247]
	v_add_f64 v[82:83], v[34:35], -v[179:180]
	v_fma_f64 v[32:33], v[32:33], 2.0, -v[80:81]
	v_fma_f64 v[185:186], v[84:85], v[244:245], -v[64:65]
	v_mul_f64 v[64:65], v[84:85], v[246:247]
	v_add_f64 v[84:85], v[28:29], -v[181:182]
	v_fma_f64 v[34:35], v[34:35], 2.0, -v[82:83]
	;; [unrolled: 8-line block ×5, first 2 shown]
	v_add_f64 v[152:153], v[12:13], -v[214:215]
	v_fma_f64 v[218:219], v[150:151], v[0:1], v[64:65]
	v_mul_f64 v[64:65], v[58:59], v[6:7]
	v_add_f64 v[150:151], v[18:19], -v[212:213]
	v_fma_f64 v[16:17], v[16:17], 2.0, -v[148:149]
	v_fma_f64 v[12:13], v[12:13], 2.0, -v[152:153]
	v_fma_f64 v[220:221], v[56:57], v[4:5], -v[64:65]
	v_mul_f64 v[56:57], v[56:57], v[6:7]
	v_add_f64 v[64:65], v[48:49], -v[158:159]
	v_fma_f64 v[18:19], v[18:19], 2.0, -v[150:151]
	v_fma_f64 v[222:223], v[58:59], v[4:5], v[56:57]
	v_add_f64 v[56:57], v[52:53], -v[154:155]
	v_add_f64 v[58:59], v[54:55], -v[156:157]
	v_add_f64 v[156:157], v[8:9], -v[220:221]
	v_add_f64 v[154:155], v[14:15], -v[218:219]
	v_fma_f64 v[48:49], v[48:49], 2.0, -v[64:65]
	v_add_f64 v[158:159], v[10:11], -v[222:223]
	v_fma_f64 v[52:53], v[52:53], 2.0, -v[56:57]
	v_fma_f64 v[54:55], v[54:55], 2.0, -v[58:59]
	;; [unrolled: 1-line block ×5, first 2 shown]
	ds_write_b128 v216, v[52:55]
	ds_write_b128 v216, v[56:59] offset:4992
	ds_write_b128 v216, v[48:51] offset:832
	;; [unrolled: 1-line block ×23, first 2 shown]
	s_waitcnt lgkmcnt(0)
	; wave barrier
	s_waitcnt lgkmcnt(0)
	ds_read_b128 v[236:239], v216
	ds_read_b128 v[16:19], v216 offset:9984
	ds_read_b128 v[152:155], v216 offset:832
	;; [unrolled: 1-line block ×23, first 2 shown]
	global_load_dwordx4 v[167:170], v[160:161], off offset:1760
	s_waitcnt vmcnt(0) lgkmcnt(14)
	v_mul_f64 v[12:13], v[18:19], v[169:170]
	v_mul_f64 v[14:15], v[16:17], v[169:170]
	v_fma_f64 v[12:13], v[16:17], v[167:168], -v[12:13]
	buffer_store_dword v167, off, s[52:55], 0 offset:932 ; 4-byte Folded Spill
	s_nop 0
	buffer_store_dword v168, off, s[52:55], 0 offset:936 ; 4-byte Folded Spill
	buffer_store_dword v169, off, s[52:55], 0 offset:940 ; 4-byte Folded Spill
	;; [unrolled: 1-line block ×3, first 2 shown]
	v_fma_f64 v[14:15], v[18:19], v[167:168], v[14:15]
	global_load_dwordx4 v[16:19], v[160:161], off offset:2592
	s_waitcnt vmcnt(0)
	v_mul_f64 v[162:163], v[22:23], v[18:19]
	v_fma_f64 v[167:168], v[20:21], v[16:17], -v[162:163]
	v_mul_f64 v[20:21], v[20:21], v[18:19]
	buffer_store_dword v16, off, s[52:55], 0 offset:948 ; 4-byte Folded Spill
	s_nop 0
	buffer_store_dword v17, off, s[52:55], 0 offset:952 ; 4-byte Folded Spill
	buffer_store_dword v18, off, s[52:55], 0 offset:956 ; 4-byte Folded Spill
	;; [unrolled: 1-line block ×3, first 2 shown]
	v_fma_f64 v[169:170], v[22:23], v[16:17], v[20:21]
	global_load_dwordx4 v[16:19], v[160:161], off offset:3424
	s_waitcnt vmcnt(0)
	v_mul_f64 v[160:161], v[26:27], v[18:19]
	v_fma_f64 v[171:172], v[24:25], v[16:17], -v[160:161]
	v_mul_f64 v[24:25], v[24:25], v[18:19]
	buffer_store_dword v16, off, s[52:55], 0 offset:964 ; 4-byte Folded Spill
	s_nop 0
	buffer_store_dword v17, off, s[52:55], 0 offset:968 ; 4-byte Folded Spill
	buffer_store_dword v18, off, s[52:55], 0 offset:972 ; 4-byte Folded Spill
	;; [unrolled: 1-line block ×3, first 2 shown]
	v_add_co_u32_e64 v160, s[0:1], s13, v165
	v_addc_co_u32_e64 v161, s[0:1], 0, v166, s[0:1]
	v_fma_f64 v[173:174], v[26:27], v[16:17], v[24:25]
	global_load_dwordx4 v[16:19], v[160:161], off offset:160
	s_waitcnt vmcnt(0)
	v_mul_f64 v[162:163], v[30:31], v[18:19]
	v_fma_f64 v[175:176], v[28:29], v[16:17], -v[162:163]
	v_mul_f64 v[28:29], v[28:29], v[18:19]
	buffer_store_dword v16, off, s[52:55], 0 offset:980 ; 4-byte Folded Spill
	s_nop 0
	buffer_store_dword v17, off, s[52:55], 0 offset:984 ; 4-byte Folded Spill
	buffer_store_dword v18, off, s[52:55], 0 offset:988 ; 4-byte Folded Spill
	;; [unrolled: 1-line block ×3, first 2 shown]
	v_fma_f64 v[177:178], v[30:31], v[16:17], v[28:29]
	global_load_dwordx4 v[16:19], v[160:161], off offset:992
	s_waitcnt vmcnt(0)
	v_mul_f64 v[162:163], v[34:35], v[18:19]
	v_fma_f64 v[179:180], v[32:33], v[16:17], -v[162:163]
	v_mul_f64 v[32:33], v[32:33], v[18:19]
	buffer_store_dword v16, off, s[52:55], 0 offset:996 ; 4-byte Folded Spill
	s_nop 0
	buffer_store_dword v17, off, s[52:55], 0 offset:1000 ; 4-byte Folded Spill
	buffer_store_dword v18, off, s[52:55], 0 offset:1004 ; 4-byte Folded Spill
	;; [unrolled: 1-line block ×3, first 2 shown]
	v_fma_f64 v[181:182], v[34:35], v[16:17], v[32:33]
	global_load_dwordx4 v[16:19], v[160:161], off offset:1824
	s_waitcnt vmcnt(0) lgkmcnt(12)
	v_mul_f64 v[162:163], v[38:39], v[18:19]
	v_fma_f64 v[183:184], v[36:37], v[16:17], -v[162:163]
	v_mul_f64 v[36:37], v[36:37], v[18:19]
	buffer_store_dword v16, off, s[52:55], 0 offset:1012 ; 4-byte Folded Spill
	s_nop 0
	buffer_store_dword v17, off, s[52:55], 0 offset:1016 ; 4-byte Folded Spill
	buffer_store_dword v18, off, s[52:55], 0 offset:1020 ; 4-byte Folded Spill
	buffer_store_dword v19, off, s[52:55], 0 offset:1024 ; 4-byte Folded Spill
	v_fma_f64 v[185:186], v[38:39], v[16:17], v[36:37]
	global_load_dwordx4 v[16:19], v[160:161], off offset:2656
	s_waitcnt vmcnt(0) lgkmcnt(10)
	v_mul_f64 v[162:163], v[42:43], v[18:19]
	v_fma_f64 v[204:205], v[40:41], v[16:17], -v[162:163]
	v_mul_f64 v[40:41], v[40:41], v[18:19]
	buffer_store_dword v16, off, s[52:55], 0 offset:1028 ; 4-byte Folded Spill
	s_nop 0
	buffer_store_dword v17, off, s[52:55], 0 offset:1032 ; 4-byte Folded Spill
	buffer_store_dword v18, off, s[52:55], 0 offset:1036 ; 4-byte Folded Spill
	;; [unrolled: 1-line block ×3, first 2 shown]
	v_add_f64 v[204:205], v[80:81], -v[204:205]
	v_fma_f64 v[80:81], v[80:81], 2.0, -v[204:205]
	v_fma_f64 v[206:207], v[42:43], v[16:17], v[40:41]
	global_load_dwordx4 v[16:19], v[160:161], off offset:3488
	v_add_f64 v[206:207], v[82:83], -v[206:207]
	v_fma_f64 v[82:83], v[82:83], 2.0, -v[206:207]
	s_waitcnt vmcnt(0) lgkmcnt(8)
	v_mul_f64 v[160:161], v[46:47], v[18:19]
	v_fma_f64 v[208:209], v[44:45], v[16:17], -v[160:161]
	v_mul_f64 v[44:45], v[44:45], v[18:19]
	buffer_store_dword v16, off, s[52:55], 0 offset:1044 ; 4-byte Folded Spill
	s_nop 0
	buffer_store_dword v17, off, s[52:55], 0 offset:1048 ; 4-byte Folded Spill
	buffer_store_dword v18, off, s[52:55], 0 offset:1052 ; 4-byte Folded Spill
	buffer_store_dword v19, off, s[52:55], 0 offset:1056 ; 4-byte Folded Spill
	v_add_co_u32_e64 v160, s[0:1], s12, v165
	v_addc_co_u32_e64 v161, s[0:1], 0, v166, s[0:1]
	v_add_f64 v[165:166], v[152:153], -v[167:168]
	v_add_f64 v[167:168], v[154:155], -v[169:170]
	;; [unrolled: 1-line block ×11, first 2 shown]
	v_fma_f64 v[152:153], v[152:153], 2.0, -v[165:166]
	v_fma_f64 v[154:155], v[154:155], 2.0, -v[167:168]
	;; [unrolled: 1-line block ×11, first 2 shown]
	v_fma_f64 v[210:211], v[46:47], v[16:17], v[44:45]
	global_load_dwordx4 v[44:47], v[160:161], off offset:224
	v_add_f64 v[210:211], v[78:79], -v[210:211]
	v_fma_f64 v[78:79], v[78:79], 2.0, -v[210:211]
	s_waitcnt vmcnt(0) lgkmcnt(6)
	v_mul_f64 v[162:163], v[50:51], v[46:47]
	v_fma_f64 v[212:213], v[48:49], v[44:45], -v[162:163]
	v_mul_f64 v[48:49], v[48:49], v[46:47]
	v_add_f64 v[212:213], v[72:73], -v[212:213]
	v_fma_f64 v[214:215], v[50:51], v[44:45], v[48:49]
	global_load_dwordx4 v[48:51], v[160:161], off offset:1056
	v_fma_f64 v[72:73], v[72:73], 2.0, -v[212:213]
	v_add_f64 v[214:215], v[74:75], -v[214:215]
	v_fma_f64 v[74:75], v[74:75], 2.0, -v[214:215]
	s_waitcnt vmcnt(0) lgkmcnt(4)
	v_mul_f64 v[162:163], v[54:55], v[50:51]
	v_fma_f64 v[218:219], v[52:53], v[48:49], -v[162:163]
	v_mul_f64 v[52:53], v[52:53], v[50:51]
	v_fma_f64 v[220:221], v[54:55], v[48:49], v[52:53]
	global_load_dwordx4 v[52:55], v[160:161], off offset:1888
	s_waitcnt vmcnt(0) lgkmcnt(2)
	v_mul_f64 v[162:163], v[58:59], v[54:55]
	v_fma_f64 v[222:223], v[56:57], v[52:53], -v[162:163]
	v_mul_f64 v[56:57], v[56:57], v[54:55]
	v_fma_f64 v[224:225], v[58:59], v[52:53], v[56:57]
	global_load_dwordx4 v[56:59], v[160:161], off offset:2720
	s_waitcnt vmcnt(0) lgkmcnt(0)
	v_mul_f64 v[160:161], v[158:159], v[58:59]
	v_fma_f64 v[226:227], v[156:157], v[56:57], -v[160:161]
	v_mul_f64 v[156:157], v[156:157], v[58:59]
	v_fma_f64 v[228:229], v[158:159], v[56:57], v[156:157]
	v_add_f64 v[156:157], v[236:237], -v[12:13]
	v_add_f64 v[158:159], v[238:239], -v[14:15]
	v_mov_b32_e32 v12, s7
	v_fma_f64 v[160:161], v[236:237], 2.0, -v[156:157]
	v_fma_f64 v[162:163], v[238:239], 2.0, -v[158:159]
	v_add_f64 v[236:237], v[68:69], -v[218:219]
	v_add_f64 v[238:239], v[70:71], -v[220:221]
	;; [unrolled: 1-line block ×6, first 2 shown]
	v_fma_f64 v[68:69], v[68:69], 2.0, -v[236:237]
	v_fma_f64 v[70:71], v[70:71], 2.0, -v[238:239]
	v_fma_f64 v[66:67], v[66:67], 2.0, -v[220:221]
	v_fma_f64 v[64:65], v[64:65], 2.0, -v[218:219]
	v_fma_f64 v[8:9], v[8:9], 2.0, -v[222:223]
	v_fma_f64 v[10:11], v[10:11], 2.0, -v[224:225]
	ds_write_b128 v216, v[160:163]
	ds_write_b128 v216, v[156:159] offset:9984
	ds_write_b128 v216, v[152:155] offset:832
	;; [unrolled: 1-line block ×23, first 2 shown]
	s_waitcnt lgkmcnt(0)
	; wave barrier
	s_waitcnt lgkmcnt(0)
	global_load_dwordx4 v[66:69], v164, s[6:7]
	ds_read_b128 v[8:11], v216
	v_add_co_u32_e64 v64, s[0:1], s6, v164
	v_addc_co_u32_e64 v65, s[0:1], 0, v12, s[0:1]
	s_waitcnt vmcnt(0) lgkmcnt(0)
	v_mul_f64 v[12:13], v[10:11], v[68:69]
	v_fma_f64 v[70:71], v[8:9], v[66:67], -v[12:13]
	v_mul_f64 v[8:9], v[8:9], v[68:69]
	v_fma_f64 v[72:73], v[10:11], v[66:67], v[8:9]
	v_add_co_u32_e64 v8, s[0:1], s3, v64
	v_addc_co_u32_e64 v9, s[0:1], 0, v65, s[0:1]
	ds_read_b128 v[66:69], v216 offset:9984
	ds_write_b128 v216, v[70:73]
	global_load_dwordx4 v[70:73], v[8:9], off offset:1792
	s_waitcnt vmcnt(0) lgkmcnt(1)
	v_mul_f64 v[10:11], v[68:69], v[72:73]
	v_fma_f64 v[74:75], v[66:67], v[70:71], -v[10:11]
	v_mul_f64 v[10:11], v[66:67], v[72:73]
	v_fma_f64 v[76:77], v[68:69], v[70:71], v[10:11]
	global_load_dwordx4 v[70:73], v164, s[6:7] offset:832
	ds_read_b128 v[66:69], v216 offset:832
	ds_write_b128 v216, v[74:77] offset:9984
	s_waitcnt vmcnt(0) lgkmcnt(1)
	v_mul_f64 v[10:11], v[68:69], v[72:73]
	v_fma_f64 v[74:75], v[66:67], v[70:71], -v[10:11]
	v_mul_f64 v[10:11], v[66:67], v[72:73]
	v_fma_f64 v[76:77], v[68:69], v[70:71], v[10:11]
	global_load_dwordx4 v[70:73], v[8:9], off offset:2624
	ds_read_b128 v[66:69], v216 offset:10816
	ds_write_b128 v216, v[74:77] offset:832
	s_waitcnt vmcnt(0) lgkmcnt(1)
	v_mul_f64 v[10:11], v[68:69], v[72:73]
	v_fma_f64 v[74:75], v[66:67], v[70:71], -v[10:11]
	v_mul_f64 v[10:11], v[66:67], v[72:73]
	v_fma_f64 v[76:77], v[68:69], v[70:71], v[10:11]
	global_load_dwordx4 v[70:73], v164, s[6:7] offset:1664
	ds_read_b128 v[66:69], v216 offset:1664
	ds_write_b128 v216, v[74:77] offset:10816
	s_waitcnt vmcnt(0) lgkmcnt(1)
	v_mul_f64 v[10:11], v[68:69], v[72:73]
	v_fma_f64 v[74:75], v[66:67], v[70:71], -v[10:11]
	v_mul_f64 v[10:11], v[66:67], v[72:73]
	v_fma_f64 v[76:77], v[68:69], v[70:71], v[10:11]
	global_load_dwordx4 v[70:73], v[8:9], off offset:3456
	ds_read_b128 v[66:69], v216 offset:11648
	ds_write_b128 v216, v[74:77] offset:1664
	s_waitcnt vmcnt(0) lgkmcnt(1)
	v_mul_f64 v[10:11], v[68:69], v[72:73]
	v_fma_f64 v[74:75], v[66:67], v[70:71], -v[10:11]
	v_mul_f64 v[10:11], v[66:67], v[72:73]
	v_fma_f64 v[76:77], v[68:69], v[70:71], v[10:11]
	global_load_dwordx4 v[70:73], v164, s[6:7] offset:2496
	ds_read_b128 v[66:69], v216 offset:2496
	ds_write_b128 v216, v[74:77] offset:11648
	s_waitcnt vmcnt(0) lgkmcnt(1)
	v_mul_f64 v[10:11], v[68:69], v[72:73]
	v_fma_f64 v[74:75], v[66:67], v[70:71], -v[10:11]
	v_mul_f64 v[10:11], v[66:67], v[72:73]
	v_fma_f64 v[76:77], v[68:69], v[70:71], v[10:11]
	v_add_co_u32_e64 v10, s[0:1], s13, v64
	v_addc_co_u32_e64 v11, s[0:1], 0, v65, s[0:1]
	global_load_dwordx4 v[70:73], v[10:11], off offset:192
	ds_read_b128 v[66:69], v216 offset:12480
	ds_write_b128 v216, v[74:77] offset:2496
	s_waitcnt vmcnt(0) lgkmcnt(1)
	v_mul_f64 v[12:13], v[68:69], v[72:73]
	v_fma_f64 v[74:75], v[66:67], v[70:71], -v[12:13]
	v_mul_f64 v[12:13], v[66:67], v[72:73]
	v_fma_f64 v[76:77], v[68:69], v[70:71], v[12:13]
	global_load_dwordx4 v[70:73], v164, s[6:7] offset:3328
	ds_read_b128 v[66:69], v216 offset:3328
	ds_write_b128 v216, v[74:77] offset:12480
	s_waitcnt vmcnt(0) lgkmcnt(1)
	v_mul_f64 v[12:13], v[68:69], v[72:73]
	v_fma_f64 v[74:75], v[66:67], v[70:71], -v[12:13]
	v_mul_f64 v[12:13], v[66:67], v[72:73]
	v_fma_f64 v[76:77], v[68:69], v[70:71], v[12:13]
	buffer_load_dword v12, off, s[52:55], 0 offset:1156 ; 4-byte Folded Reload
	ds_read_b128 v[66:69], v216 offset:13312
	ds_write_b128 v216, v[74:77] offset:3328
	s_waitcnt vmcnt(0)
	global_load_dwordx4 v[70:73], v12, s[6:7]
	s_waitcnt vmcnt(0) lgkmcnt(1)
	v_mul_f64 v[12:13], v[68:69], v[72:73]
	v_fma_f64 v[74:75], v[66:67], v[70:71], -v[12:13]
	v_mul_f64 v[12:13], v[66:67], v[72:73]
	v_fma_f64 v[76:77], v[68:69], v[70:71], v[12:13]
	v_add_co_u32_e64 v12, s[0:1], s2, v64
	v_addc_co_u32_e64 v13, s[0:1], 0, v65, s[0:1]
	global_load_dwordx4 v[70:73], v[12:13], off offset:64
	ds_read_b128 v[66:69], v216 offset:4160
	ds_write_b128 v216, v[74:77] offset:13312
	s_waitcnt vmcnt(0) lgkmcnt(1)
	v_mul_f64 v[14:15], v[68:69], v[72:73]
	v_fma_f64 v[74:75], v[66:67], v[70:71], -v[14:15]
	v_mul_f64 v[14:15], v[66:67], v[72:73]
	v_fma_f64 v[76:77], v[68:69], v[70:71], v[14:15]
	global_load_dwordx4 v[70:73], v[10:11], off offset:1856
	ds_read_b128 v[66:69], v216 offset:14144
	ds_write_b128 v216, v[74:77] offset:4160
	s_waitcnt vmcnt(0) lgkmcnt(1)
	v_mul_f64 v[14:15], v[68:69], v[72:73]
	v_fma_f64 v[74:75], v[66:67], v[70:71], -v[14:15]
	v_mul_f64 v[14:15], v[66:67], v[72:73]
	v_fma_f64 v[76:77], v[68:69], v[70:71], v[14:15]
	global_load_dwordx4 v[70:73], v[12:13], off offset:896
	ds_read_b128 v[66:69], v216 offset:4992
	ds_write_b128 v216, v[74:77] offset:14144
	s_waitcnt vmcnt(0) lgkmcnt(1)
	v_mul_f64 v[14:15], v[68:69], v[72:73]
	v_fma_f64 v[74:75], v[66:67], v[70:71], -v[14:15]
	v_mul_f64 v[14:15], v[66:67], v[72:73]
	v_fma_f64 v[76:77], v[68:69], v[70:71], v[14:15]
	global_load_dwordx4 v[70:73], v[10:11], off offset:2688
	ds_read_b128 v[66:69], v216 offset:14976
	ds_write_b128 v216, v[74:77] offset:4992
	s_waitcnt vmcnt(0) lgkmcnt(1)
	v_mul_f64 v[14:15], v[68:69], v[72:73]
	v_fma_f64 v[74:75], v[66:67], v[70:71], -v[14:15]
	v_mul_f64 v[14:15], v[66:67], v[72:73]
	v_fma_f64 v[76:77], v[68:69], v[70:71], v[14:15]
	global_load_dwordx4 v[70:73], v[12:13], off offset:1728
	ds_read_b128 v[66:69], v216 offset:5824
	ds_write_b128 v216, v[74:77] offset:14976
	s_waitcnt vmcnt(0) lgkmcnt(1)
	v_mul_f64 v[14:15], v[68:69], v[72:73]
	v_fma_f64 v[74:75], v[66:67], v[70:71], -v[14:15]
	v_mul_f64 v[14:15], v[66:67], v[72:73]
	v_fma_f64 v[76:77], v[68:69], v[70:71], v[14:15]
	global_load_dwordx4 v[70:73], v[10:11], off offset:3520
	ds_read_b128 v[66:69], v216 offset:15808
	v_add_co_u32_e64 v14, s[0:1], s12, v64
	v_addc_co_u32_e64 v15, s[0:1], 0, v65, s[0:1]
	ds_write_b128 v216, v[74:77] offset:5824
	s_waitcnt vmcnt(0) lgkmcnt(1)
	v_mul_f64 v[10:11], v[68:69], v[72:73]
	v_fma_f64 v[74:75], v[66:67], v[70:71], -v[10:11]
	v_mul_f64 v[10:11], v[66:67], v[72:73]
	v_fma_f64 v[76:77], v[68:69], v[70:71], v[10:11]
	global_load_dwordx4 v[70:73], v[12:13], off offset:2560
	ds_read_b128 v[66:69], v216 offset:6656
	ds_write_b128 v216, v[74:77] offset:15808
	s_waitcnt vmcnt(0) lgkmcnt(1)
	v_mul_f64 v[10:11], v[68:69], v[72:73]
	v_fma_f64 v[74:75], v[66:67], v[70:71], -v[10:11]
	v_mul_f64 v[10:11], v[66:67], v[72:73]
	v_fma_f64 v[76:77], v[68:69], v[70:71], v[10:11]
	global_load_dwordx4 v[70:73], v[14:15], off offset:256
	ds_read_b128 v[66:69], v216 offset:16640
	ds_write_b128 v216, v[74:77] offset:6656
	s_waitcnt vmcnt(0) lgkmcnt(1)
	v_mul_f64 v[10:11], v[68:69], v[72:73]
	v_fma_f64 v[64:65], v[66:67], v[70:71], -v[10:11]
	v_mul_f64 v[10:11], v[66:67], v[72:73]
	v_fma_f64 v[66:67], v[68:69], v[70:71], v[10:11]
	global_load_dwordx4 v[68:71], v[12:13], off offset:3392
	ds_write_b128 v216, v[64:67] offset:16640
	ds_read_b128 v[64:67], v216 offset:7488
	s_waitcnt vmcnt(0) lgkmcnt(0)
	v_mul_f64 v[10:11], v[66:67], v[70:71]
	v_fma_f64 v[72:73], v[64:65], v[68:69], -v[10:11]
	v_mul_f64 v[10:11], v[64:65], v[70:71]
	v_fma_f64 v[74:75], v[66:67], v[68:69], v[10:11]
	global_load_dwordx4 v[68:71], v[14:15], off offset:1088
	ds_read_b128 v[64:67], v216 offset:17472
	ds_write_b128 v216, v[72:75] offset:7488
	s_waitcnt vmcnt(0) lgkmcnt(1)
	v_mul_f64 v[10:11], v[66:67], v[70:71]
	v_fma_f64 v[72:73], v[64:65], v[68:69], -v[10:11]
	v_mul_f64 v[10:11], v[64:65], v[70:71]
	v_fma_f64 v[74:75], v[66:67], v[68:69], v[10:11]
	global_load_dwordx4 v[68:71], v[8:9], off offset:128
	ds_read_b128 v[64:67], v216 offset:8320
	ds_write_b128 v216, v[72:75] offset:17472
	;; [unrolled: 8-line block ×4, first 2 shown]
	s_waitcnt vmcnt(0) lgkmcnt(1)
	v_mul_f64 v[12:13], v[66:67], v[10:11]
	v_mul_f64 v[10:11], v[64:65], v[10:11]
	v_fma_f64 v[68:69], v[64:65], v[8:9], -v[12:13]
	v_fma_f64 v[70:71], v[66:67], v[8:9], v[10:11]
	global_load_dwordx4 v[64:67], v[14:15], off offset:2752
	ds_read_b128 v[8:11], v216 offset:19136
	ds_write_b128 v216, v[68:71] offset:9152
	s_waitcnt vmcnt(0) lgkmcnt(1)
	v_mul_f64 v[12:13], v[10:11], v[66:67]
	v_fma_f64 v[68:69], v[8:9], v[64:65], -v[12:13]
	v_mul_f64 v[8:9], v[8:9], v[66:67]
	v_fma_f64 v[70:71], v[10:11], v[64:65], v[8:9]
	ds_write_b128 v216, v[68:71] offset:19136
	s_waitcnt lgkmcnt(0)
	; wave barrier
	s_waitcnt lgkmcnt(0)
	ds_read_b128 v[8:11], v216
	ds_read_b128 v[64:67], v216 offset:9984
	ds_read_b128 v[68:71], v216 offset:832
	;; [unrolled: 1-line block ×23, first 2 shown]
	s_waitcnt lgkmcnt(0)
	; wave barrier
	s_waitcnt lgkmcnt(0)
	buffer_load_dword v12, off, s[52:55], 0 offset:1152 ; 4-byte Folded Reload
	v_add_f64 v[64:65], v[8:9], -v[64:65]
	v_add_f64 v[66:67], v[10:11], -v[66:67]
	v_add_f64 v[72:73], v[68:69], -v[72:73]
	v_add_f64 v[74:75], v[70:71], -v[74:75]
	v_add_f64 v[80:81], v[76:77], -v[80:81]
	v_add_f64 v[82:83], v[78:79], -v[82:83]
	v_add_f64 v[88:89], v[84:85], -v[88:89]
	v_add_f64 v[90:91], v[86:87], -v[90:91]
	v_fma_f64 v[8:9], v[8:9], 2.0, -v[64:65]
	v_fma_f64 v[10:11], v[10:11], 2.0, -v[66:67]
	;; [unrolled: 1-line block ×4, first 2 shown]
	s_waitcnt vmcnt(0)
	ds_write_b128 v12, v[8:11]
	ds_write_b128 v12, v[64:67] offset:16
	ds_write_b128 v230, v[68:71]
	ds_write_b128 v230, v[72:75] offset:16
	buffer_load_dword v8, off, s[52:55], 0 offset:1144 ; 4-byte Folded Reload
	v_fma_f64 v[76:77], v[76:77], 2.0, -v[80:81]
	v_fma_f64 v[78:79], v[78:79], 2.0, -v[82:83]
	s_waitcnt vmcnt(0)
	ds_write_b128 v8, v[76:79]
	ds_write_b128 v8, v[80:83] offset:16
	buffer_load_dword v8, off, s[52:55], 0 offset:1140 ; 4-byte Folded Reload
	v_fma_f64 v[84:85], v[84:85], 2.0, -v[88:89]
	v_fma_f64 v[86:87], v[86:87], 2.0, -v[90:91]
	s_waitcnt vmcnt(0)
	ds_write_b128 v8, v[84:87]
	ds_write_b128 v8, v[88:91] offset:16
	buffer_load_dword v8, off, s[52:55], 0 offset:1136 ; 4-byte Folded Reload
	v_add_f64 v[148:149], v[92:93], -v[148:149]
	v_add_f64 v[150:151], v[94:95], -v[150:151]
	;; [unrolled: 1-line block ×8, first 2 shown]
	v_fma_f64 v[92:93], v[92:93], 2.0, -v[148:149]
	v_fma_f64 v[94:95], v[94:95], 2.0, -v[150:151]
	s_waitcnt vmcnt(0)
	ds_write_b128 v8, v[92:95]
	ds_write_b128 v8, v[148:151] offset:16
	buffer_load_dword v8, off, s[52:55], 0 offset:1132 ; 4-byte Folded Reload
	v_fma_f64 v[152:153], v[152:153], 2.0, -v[156:157]
	v_fma_f64 v[154:155], v[154:155], 2.0, -v[158:159]
	s_waitcnt vmcnt(0)
	ds_write_b128 v8, v[152:155]
	ds_write_b128 v8, v[156:159] offset:16
	buffer_load_dword v8, off, s[52:55], 0 offset:1128 ; 4-byte Folded Reload
	;; [unrolled: 6-line block ×4, first 2 shown]
	v_add_f64 v[180:181], v[176:177], -v[180:181]
	v_add_f64 v[182:183], v[178:179], -v[182:183]
	;; [unrolled: 1-line block ×8, first 2 shown]
	v_fma_f64 v[176:177], v[176:177], 2.0, -v[180:181]
	v_fma_f64 v[178:179], v[178:179], 2.0, -v[182:183]
	s_waitcnt vmcnt(0)
	ds_write_b128 v8, v[176:179]
	ds_write_b128 v8, v[180:183] offset:16
	buffer_load_dword v8, off, s[52:55], 0 offset:1116 ; 4-byte Folded Reload
	v_fma_f64 v[184:185], v[184:185], 2.0, -v[204:205]
	v_fma_f64 v[186:187], v[186:187], 2.0, -v[206:207]
	s_waitcnt vmcnt(0)
	ds_write_b128 v8, v[184:187]
	ds_write_b128 v8, v[204:207] offset:16
	buffer_load_dword v8, off, s[52:55], 0 offset:1120 ; 4-byte Folded Reload
	;; [unrolled: 6-line block ×3, first 2 shown]
	v_fma_f64 v[218:219], v[218:219], 2.0, -v[222:223]
	v_fma_f64 v[220:221], v[220:221], 2.0, -v[224:225]
	s_waitcnt vmcnt(0)
	ds_write_b128 v8, v[218:221]
	ds_write_b128 v8, v[222:225] offset:16
	s_waitcnt lgkmcnt(0)
	; wave barrier
	s_waitcnt lgkmcnt(0)
	ds_read_b128 v[8:11], v216
	ds_read_b128 v[64:67], v216 offset:9984
	ds_read_b128 v[68:71], v216 offset:832
	;; [unrolled: 1-line block ×23, first 2 shown]
	s_waitcnt lgkmcnt(14)
	v_mul_f64 v[12:13], v[62:63], v[66:67]
	v_mul_f64 v[14:15], v[62:63], v[64:65]
	s_waitcnt lgkmcnt(8)
	v_mul_f64 v[18:19], v[62:63], v[174:175]
	s_waitcnt lgkmcnt(6)
	;; [unrolled: 2-line block ×5, first 2 shown]
	v_mul_f64 v[34:35], v[62:63], v[224:225]
	v_fma_f64 v[12:13], v[60:61], v[64:65], v[12:13]
	v_mul_f64 v[64:65], v[62:63], v[74:75]
	v_fma_f64 v[14:15], v[60:61], v[66:67], -v[14:15]
	v_mul_f64 v[66:67], v[62:63], v[72:73]
	; wave barrier
	v_fma_f64 v[18:19], v[60:61], v[172:173], v[18:19]
	v_fma_f64 v[22:23], v[60:61], v[180:181], v[22:23]
	;; [unrolled: 1-line block ×5, first 2 shown]
	v_mul_f64 v[72:73], v[62:63], v[82:83]
	v_fma_f64 v[66:67], v[60:61], v[74:75], -v[66:67]
	v_mul_f64 v[74:75], v[62:63], v[80:81]
	v_fma_f64 v[34:35], v[60:61], v[222:223], v[34:35]
	v_fma_f64 v[72:73], v[60:61], v[80:81], v[72:73]
	v_mul_f64 v[80:81], v[62:63], v[90:91]
	v_fma_f64 v[74:75], v[60:61], v[82:83], -v[74:75]
	v_mul_f64 v[82:83], v[62:63], v[88:89]
	v_fma_f64 v[80:81], v[60:61], v[88:89], v[80:81]
	v_mul_f64 v[88:89], v[62:63], v[150:151]
	v_fma_f64 v[82:83], v[60:61], v[90:91], -v[82:83]
	v_mul_f64 v[90:91], v[62:63], v[148:149]
	v_fma_f64 v[88:89], v[60:61], v[148:149], v[88:89]
	v_mul_f64 v[148:149], v[62:63], v[158:159]
	v_fma_f64 v[90:91], v[60:61], v[150:151], -v[90:91]
	v_add_f64 v[150:151], v[10:11], -v[14:15]
	v_add_f64 v[226:227], v[92:93], -v[88:89]
	v_fma_f64 v[236:237], v[60:61], v[156:157], v[148:149]
	v_mul_f64 v[148:149], v[62:63], v[156:157]
	v_add_f64 v[228:229], v[94:95], -v[90:91]
	v_fma_f64 v[230:231], v[92:93], 2.0, -v[226:227]
	v_add_f64 v[92:93], v[208:209], -v[30:31]
	v_fma_f64 v[238:239], v[60:61], v[158:159], -v[148:149]
	v_mul_f64 v[148:149], v[62:63], v[166:167]
	v_fma_f64 v[158:159], v[10:11], 2.0, -v[150:151]
	v_fma_f64 v[232:233], v[94:95], 2.0, -v[228:229]
	v_add_f64 v[14:15], v[154:155], -v[238:239]
	v_fma_f64 v[234:235], v[60:61], v[164:165], v[148:149]
	v_mul_f64 v[148:149], v[62:63], v[164:165]
	v_add_f64 v[164:165], v[68:69], -v[64:65]
	v_fma_f64 v[154:155], v[154:155], 2.0, -v[14:15]
	v_fma_f64 v[16:17], v[60:61], v[166:167], -v[148:149]
	v_mul_f64 v[148:149], v[62:63], v[172:173]
	v_add_f64 v[166:167], v[70:71], -v[66:67]
	v_fma_f64 v[172:173], v[68:69], 2.0, -v[164:165]
	v_add_f64 v[68:69], v[168:169], -v[18:19]
	v_fma_f64 v[20:21], v[60:61], v[174:175], -v[148:149]
	v_mul_f64 v[148:149], v[62:63], v[180:181]
	v_fma_f64 v[174:175], v[70:71], 2.0, -v[166:167]
	v_add_f64 v[180:181], v[76:77], -v[72:73]
	v_fma_f64 v[64:65], v[168:169], 2.0, -v[68:69]
	v_add_f64 v[70:71], v[170:171], -v[20:21]
	v_fma_f64 v[24:25], v[60:61], v[182:183], -v[148:149]
	v_mul_f64 v[148:149], v[62:63], v[204:205]
	v_add_f64 v[182:183], v[78:79], -v[74:75]
	v_fma_f64 v[204:205], v[76:77], 2.0, -v[180:181]
	v_add_f64 v[76:77], v[176:177], -v[22:23]
	v_fma_f64 v[66:67], v[170:171], 2.0, -v[70:71]
	v_fma_f64 v[28:29], v[60:61], v[206:207], -v[148:149]
	v_mul_f64 v[148:149], v[62:63], v[212:213]
	v_mul_f64 v[62:63], v[62:63], v[222:223]
	v_fma_f64 v[206:207], v[78:79], 2.0, -v[182:183]
	v_add_f64 v[212:213], v[84:85], -v[80:81]
	v_add_f64 v[78:79], v[178:179], -v[24:25]
	v_fma_f64 v[72:73], v[176:177], 2.0, -v[76:77]
	v_add_f64 v[80:81], v[218:219], -v[34:35]
	v_add_f64 v[238:239], v[186:187], -v[28:29]
	v_fma_f64 v[32:33], v[60:61], v[214:215], -v[148:149]
	v_fma_f64 v[36:37], v[60:61], v[224:225], -v[62:63]
	v_add_f64 v[62:63], v[162:163], -v[16:17]
	buffer_load_dword v16, off, s[52:55], 0 offset:1104 ; 4-byte Folded Reload
	v_add_f64 v[148:149], v[8:9], -v[12:13]
	v_add_f64 v[214:215], v[86:87], -v[82:83]
	v_fma_f64 v[222:223], v[84:85], 2.0, -v[212:213]
	v_add_f64 v[12:13], v[152:153], -v[236:237]
	v_add_f64 v[60:61], v[160:161], -v[234:235]
	v_fma_f64 v[74:75], v[178:179], 2.0, -v[78:79]
	v_fma_f64 v[162:163], v[162:163], 2.0, -v[62:63]
	v_add_f64 v[236:237], v[184:185], -v[26:27]
	v_fma_f64 v[156:157], v[8:9], 2.0, -v[148:149]
	s_waitcnt vmcnt(0)
	ds_write_b128 v16, v[156:159]
	ds_write_b128 v16, v[148:151] offset:32
	buffer_load_dword v16, off, s[52:55], 0 offset:1100 ; 4-byte Folded Reload
	s_waitcnt vmcnt(0)
	ds_write_b128 v16, v[172:175]
	ds_write_b128 v16, v[164:167] offset:32
	buffer_load_dword v16, off, s[52:55], 0 offset:1096 ; 4-byte Folded Reload
	;; [unrolled: 4-line block ×3, first 2 shown]
	v_fma_f64 v[224:225], v[86:87], 2.0, -v[214:215]
	s_waitcnt vmcnt(0)
	ds_write_b128 v16, v[222:225]
	ds_write_b128 v16, v[212:215] offset:32
	buffer_load_dword v16, off, s[52:55], 0 offset:1088 ; 4-byte Folded Reload
	s_waitcnt vmcnt(0)
	ds_write_b128 v16, v[230:233]
	ds_write_b128 v16, v[226:229] offset:32
	buffer_load_dword v16, off, s[52:55], 0 offset:1060 ; 4-byte Folded Reload
	v_fma_f64 v[152:153], v[152:153], 2.0, -v[12:13]
	s_waitcnt vmcnt(0)
	ds_write_b128 v16, v[152:155]
	ds_write_b128 v16, v[12:15] offset:32
	buffer_load_dword v12, off, s[52:55], 0 offset:1064 ; 4-byte Folded Reload
	v_fma_f64 v[160:161], v[160:161], 2.0, -v[60:61]
	s_waitcnt vmcnt(0)
	ds_write_b128 v12, v[160:163]
	ds_write_b128 v12, v[60:63] offset:32
	buffer_load_dword v12, off, s[52:55], 0 offset:1068 ; 4-byte Folded Reload
	s_waitcnt vmcnt(0)
	ds_write_b128 v12, v[64:67]
	ds_write_b128 v12, v[68:71] offset:32
	buffer_load_dword v12, off, s[52:55], 0 offset:1072 ; 4-byte Folded Reload
	;; [unrolled: 4-line block ×3, first 2 shown]
	v_fma_f64 v[84:85], v[184:185], 2.0, -v[236:237]
	v_fma_f64 v[86:87], v[186:187], 2.0, -v[238:239]
	s_waitcnt vmcnt(0)
	ds_write_b128 v12, v[84:87]
	ds_write_b128 v12, v[236:239] offset:32
	buffer_load_dword v12, off, s[52:55], 0 offset:1080 ; 4-byte Folded Reload
	v_add_f64 v[94:95], v[210:211], -v[32:33]
	v_fma_f64 v[8:9], v[208:209], 2.0, -v[92:93]
	v_add_f64 v[82:83], v[220:221], -v[36:37]
	v_fma_f64 v[88:89], v[218:219], 2.0, -v[80:81]
	v_fma_f64 v[10:11], v[210:211], 2.0, -v[94:95]
	s_waitcnt vmcnt(0)
	ds_write_b128 v12, v[8:11]
	ds_write_b128 v12, v[92:95] offset:32
	buffer_load_dword v12, off, s[52:55], 0 offset:1084 ; 4-byte Folded Reload
	v_fma_f64 v[90:91], v[220:221], 2.0, -v[82:83]
	s_waitcnt vmcnt(0)
	ds_write_b128 v12, v[88:91]
	ds_write_b128 v12, v[80:83] offset:32
	s_waitcnt lgkmcnt(0)
	; wave barrier
	s_waitcnt lgkmcnt(0)
	ds_read_b128 v[152:155], v216
	ds_read_b128 v[212:215], v216 offset:1536
	ds_read_b128 v[208:211], v216 offset:3072
	;; [unrolled: 1-line block ×12, first 2 shown]
	s_and_saveexec_b64 s[0:1], vcc
	s_cbranch_execz .LBB0_7
; %bb.6:
	ds_read_b128 v[60:63], v216 offset:832
	ds_read_b128 v[64:67], v216 offset:2368
	ds_read_b128 v[68:71], v216 offset:3904
	ds_read_b128 v[72:75], v216 offset:5440
	ds_read_b128 v[76:79], v216 offset:6976
	ds_read_b128 v[84:87], v216 offset:8512
	ds_read_b128 v[236:239], v216 offset:10048
	ds_read_b128 v[8:11], v216 offset:11584
	ds_read_b128 v[92:95], v216 offset:13120
	ds_read_b128 v[88:91], v216 offset:14656
	ds_read_b128 v[80:83], v216 offset:16192
	ds_read_b128 v[12:15], v216 offset:17728
	s_waitcnt lgkmcnt(0)
	buffer_store_dword v12, off, s[52:55], 0 offset:24 ; 4-byte Folded Spill
	s_nop 0
	buffer_store_dword v13, off, s[52:55], 0 offset:28 ; 4-byte Folded Spill
	buffer_store_dword v14, off, s[52:55], 0 offset:32 ; 4-byte Folded Spill
	;; [unrolled: 1-line block ×3, first 2 shown]
	ds_read_b128 v[12:15], v216 offset:19264
	s_waitcnt lgkmcnt(0)
	buffer_store_dword v12, off, s[52:55], 0 offset:8 ; 4-byte Folded Spill
	s_nop 0
	buffer_store_dword v13, off, s[52:55], 0 offset:12 ; 4-byte Folded Spill
	buffer_store_dword v14, off, s[52:55], 0 offset:16 ; 4-byte Folded Spill
	;; [unrolled: 1-line block ×3, first 2 shown]
.LBB0_7:
	s_or_b64 exec, exec, s[0:1]
	buffer_load_dword v16, off, s[52:55], 0 offset:40 ; 4-byte Folded Reload
	buffer_load_dword v17, off, s[52:55], 0 offset:44 ; 4-byte Folded Reload
	;; [unrolled: 1-line block ×4, first 2 shown]
	s_mov_b32 s2, 0x4267c47c
	s_mov_b32 s12, 0x42a4c3d2
	s_mov_b32 s14, 0x66966769
	s_mov_b32 s20, 0x2ef20147
	s_mov_b32 s24, 0x24c2f84
	s_mov_b32 s30, 0x4bc48dbf
	s_mov_b32 s3, 0xbfddbe06
	s_mov_b32 s13, 0xbfea55e2
	s_mov_b32 s15, 0xbfefc445
	s_mov_b32 s21, 0xbfedeba7
	s_mov_b32 s25, 0xbfe5384d
	s_mov_b32 s31, 0xbfcea1e5
	s_mov_b32 s0, 0xe00740e9
	s_mov_b32 s6, 0x1ea71119
	s_mov_b32 s22, 0xd0032e0c
	s_mov_b32 s28, 0x93053d00
	s_mov_b32 s1, 0x3fec55a7
	s_mov_b32 s7, 0x3fe22d96
	s_mov_b32 s23, 0xbfe7f3cc
	s_mov_b32 s29, 0xbfef11f4
	s_mov_b32 s27, 0x3fddbe06
	s_mov_b32 s26, s2
	s_mov_b32 s41, 0x3fea55e2
	s_mov_b32 s40, s12
	s_mov_b32 s35, 0x3fefc445
	s_mov_b32 s34, s14
	s_mov_b32 s38, s20
	s_mov_b32 s37, 0x3fe5384d
	s_mov_b32 s36, s24
	s_mov_b32 s43, 0x3fcea1e5
	s_mov_b32 s42, s30
	s_waitcnt vmcnt(0) lgkmcnt(11)
	v_mul_f64 v[12:13], v[18:19], v[214:215]
	v_mul_f64 v[14:15], v[18:19], v[212:213]
	buffer_load_dword v18, off, s[52:55], 0 offset:72 ; 4-byte Folded Reload
	buffer_load_dword v19, off, s[52:55], 0 offset:76 ; 4-byte Folded Reload
	;; [unrolled: 1-line block ×4, first 2 shown]
	v_fma_f64 v[12:13], v[16:17], v[212:213], v[12:13]
	v_fma_f64 v[14:15], v[16:17], v[214:215], -v[14:15]
	s_waitcnt vmcnt(0) lgkmcnt(10)
	v_mul_f64 v[16:17], v[20:21], v[210:211]
	v_fma_f64 v[212:213], v[18:19], v[208:209], v[16:17]
	v_mul_f64 v[16:17], v[20:21], v[208:209]
	v_fma_f64 v[210:211], v[18:19], v[210:211], -v[16:17]
	buffer_load_dword v18, off, s[52:55], 0 offset:104 ; 4-byte Folded Reload
	buffer_load_dword v19, off, s[52:55], 0 offset:108 ; 4-byte Folded Reload
	;; [unrolled: 1-line block ×4, first 2 shown]
	s_waitcnt vmcnt(0) lgkmcnt(9)
	v_mul_f64 v[16:17], v[20:21], v[206:207]
	v_fma_f64 v[208:209], v[18:19], v[204:205], v[16:17]
	v_mul_f64 v[16:17], v[20:21], v[204:205]
	v_fma_f64 v[206:207], v[18:19], v[206:207], -v[16:17]
	buffer_load_dword v18, off, s[52:55], 0 offset:136 ; 4-byte Folded Reload
	buffer_load_dword v19, off, s[52:55], 0 offset:140 ; 4-byte Folded Reload
	;; [unrolled: 1-line block ×4, first 2 shown]
	s_waitcnt vmcnt(0) lgkmcnt(8)
	v_mul_f64 v[16:17], v[20:21], v[186:187]
	v_fma_f64 v[204:205], v[18:19], v[184:185], v[16:17]
	v_mul_f64 v[16:17], v[20:21], v[184:185]
	v_fma_f64 v[186:187], v[18:19], v[186:187], -v[16:17]
	v_mov_b32_e32 v18, v108
	v_mov_b32_e32 v20, v110
	v_mov_b32_e32 v21, v111
	s_waitcnt lgkmcnt(7)
	v_mul_f64 v[16:17], v[20:21], v[182:183]
	v_mov_b32_e32 v19, v109
	v_fma_f64 v[184:185], v[18:19], v[180:181], v[16:17]
	v_mul_f64 v[16:17], v[20:21], v[180:181]
	v_fma_f64 v[182:183], v[18:19], v[182:183], -v[16:17]
	v_mov_b32_e32 v18, v112
	v_mov_b32_e32 v20, v114
	v_mov_b32_e32 v21, v115
	s_waitcnt lgkmcnt(6)
	v_mul_f64 v[16:17], v[20:21], v[178:179]
	v_mov_b32_e32 v19, v113
	;; [unrolled: 9-line block ×4, first 2 shown]
	v_fma_f64 v[174:175], v[18:19], v[168:169], v[16:17]
	v_mul_f64 v[16:17], v[20:21], v[168:169]
	v_fma_f64 v[168:169], v[18:19], v[170:171], -v[16:17]
	buffer_load_dword v18, off, s[52:55], 0 offset:152 ; 4-byte Folded Reload
	buffer_load_dword v19, off, s[52:55], 0 offset:156 ; 4-byte Folded Reload
	buffer_load_dword v20, off, s[52:55], 0 offset:160 ; 4-byte Folded Reload
	buffer_load_dword v21, off, s[52:55], 0 offset:164 ; 4-byte Folded Reload
	s_waitcnt vmcnt(0) lgkmcnt(3)
	v_mul_f64 v[16:17], v[20:21], v[166:167]
	v_fma_f64 v[170:171], v[18:19], v[164:165], v[16:17]
	v_mul_f64 v[16:17], v[20:21], v[164:165]
	v_fma_f64 v[164:165], v[18:19], v[166:167], -v[16:17]
	buffer_load_dword v18, off, s[52:55], 0 offset:120 ; 4-byte Folded Reload
	buffer_load_dword v19, off, s[52:55], 0 offset:124 ; 4-byte Folded Reload
	buffer_load_dword v20, off, s[52:55], 0 offset:128 ; 4-byte Folded Reload
	buffer_load_dword v21, off, s[52:55], 0 offset:132 ; 4-byte Folded Reload
	s_waitcnt vmcnt(0) lgkmcnt(2)
	v_mul_f64 v[16:17], v[20:21], v[162:163]
	;; [unrolled: 9-line block ×3, first 2 shown]
	v_fma_f64 v[162:163], v[18:19], v[156:157], v[16:17]
	v_mul_f64 v[16:17], v[20:21], v[156:157]
	buffer_load_dword v20, off, s[52:55], 0 offset:56 ; 4-byte Folded Reload
	buffer_load_dword v21, off, s[52:55], 0 offset:60 ; 4-byte Folded Reload
	;; [unrolled: 1-line block ×4, first 2 shown]
	s_waitcnt lgkmcnt(0)
	; wave barrier
	s_waitcnt lgkmcnt(0)
	v_add_f64 v[42:43], v[212:213], -v[162:163]
	v_fma_f64 v[156:157], v[18:19], v[158:159], -v[16:17]
	s_waitcnt vmcnt(0)
	v_mul_f64 v[16:17], v[22:23], v[150:151]
	v_mul_f64 v[18:19], v[22:23], v[148:149]
	v_add_f64 v[22:23], v[154:155], v[14:15]
	v_fma_f64 v[16:17], v[20:21], v[148:149], v[16:17]
	v_fma_f64 v[18:19], v[20:21], v[150:151], -v[18:19]
	v_add_f64 v[20:21], v[152:153], v[12:13]
	v_add_f64 v[22:23], v[22:23], v[210:211]
	;; [unrolled: 1-line block ×23, first 2 shown]
	v_add_f64 v[14:15], v[14:15], -v[18:19]
	v_add_f64 v[148:149], v[20:21], v[16:17]
	v_add_f64 v[20:21], v[12:13], v[16:17]
	v_add_f64 v[12:13], v[12:13], -v[16:17]
	v_mul_f64 v[16:17], v[14:15], s[2:3]
	v_mul_f64 v[28:29], v[14:15], s[12:13]
	;; [unrolled: 1-line block ×8, first 2 shown]
	v_fma_f64 v[18:19], v[20:21], s[0:1], v[16:17]
	v_fma_f64 v[16:17], v[20:21], s[0:1], -v[16:17]
	v_fma_f64 v[30:31], v[20:21], s[6:7], v[28:29]
	v_fma_f64 v[28:29], v[20:21], s[6:7], -v[28:29]
	v_fma_f64 v[38:39], v[20:21], s[16:17], v[36:37]
	v_mul_f64 v[158:159], v[22:23], s[16:17]
	v_fma_f64 v[36:37], v[20:21], s[16:17], -v[36:37]
	v_fma_f64 v[220:221], v[20:21], s[18:19], v[218:219]
	v_mul_f64 v[222:223], v[22:23], s[18:19]
	v_fma_f64 v[218:219], v[20:21], s[18:19], -v[218:219]
	v_fma_f64 v[228:229], v[20:21], s[22:23], v[226:227]
	v_mul_f64 v[230:231], v[22:23], s[22:23]
	v_fma_f64 v[226:227], v[20:21], s[22:23], -v[226:227]
	v_fma_f64 v[234:235], v[20:21], s[28:29], v[14:15]
	v_mul_f64 v[22:23], v[22:23], s[28:29]
	v_fma_f64 v[14:15], v[20:21], s[28:29], -v[14:15]
	v_add_f64 v[18:19], v[152:153], v[18:19]
	v_fma_f64 v[26:27], v[12:13], s[26:27], v[24:25]
	v_add_f64 v[16:17], v[152:153], v[16:17]
	v_fma_f64 v[24:25], v[12:13], s[2:3], v[24:25]
	;; [unrolled: 2-line block ×12, first 2 shown]
	v_add_f64 v[152:153], v[210:211], -v[156:157]
	v_add_f64 v[26:27], v[154:155], v[26:27]
	v_add_f64 v[24:25], v[154:155], v[24:25]
	;; [unrolled: 1-line block ×13, first 2 shown]
	v_mul_f64 v[154:155], v[152:153], s[12:13]
	v_add_f64 v[22:23], v[210:211], v[156:157]
	v_fma_f64 v[156:157], v[20:21], s[6:7], v[154:155]
	v_fma_f64 v[154:155], v[20:21], s[6:7], -v[154:155]
	v_mul_f64 v[210:211], v[22:23], s[22:23]
	v_add_f64 v[18:19], v[156:157], v[18:19]
	v_mul_f64 v[156:157], v[22:23], s[6:7]
	v_add_f64 v[16:17], v[154:155], v[16:17]
	v_fma_f64 v[212:213], v[42:43], s[24:25], v[210:211]
	v_fma_f64 v[210:211], v[42:43], s[36:37], v[210:211]
	;; [unrolled: 1-line block ×4, first 2 shown]
	v_add_f64 v[212:213], v[212:213], v[224:225]
	v_add_f64 v[210:211], v[210:211], v[222:223]
	;; [unrolled: 1-line block ×3, first 2 shown]
	v_mul_f64 v[154:155], v[152:153], s[20:21]
	v_add_f64 v[26:27], v[162:163], v[26:27]
	v_fma_f64 v[156:157], v[20:21], s[18:19], v[154:155]
	v_fma_f64 v[154:155], v[20:21], s[18:19], -v[154:155]
	v_add_f64 v[30:31], v[156:157], v[30:31]
	v_mul_f64 v[156:157], v[22:23], s[18:19]
	v_add_f64 v[28:29], v[154:155], v[28:29]
	v_fma_f64 v[154:155], v[42:43], s[20:21], v[156:157]
	v_fma_f64 v[162:163], v[42:43], s[38:39], v[156:157]
	v_add_f64 v[32:33], v[154:155], v[32:33]
	v_mul_f64 v[154:155], v[152:153], s[30:31]
	v_add_f64 v[34:35], v[162:163], v[34:35]
	v_fma_f64 v[156:157], v[20:21], s[28:29], v[154:155]
	v_fma_f64 v[154:155], v[20:21], s[28:29], -v[154:155]
	v_add_f64 v[38:39], v[156:157], v[38:39]
	v_mul_f64 v[156:157], v[22:23], s[28:29]
	v_add_f64 v[36:37], v[154:155], v[36:37]
	v_fma_f64 v[162:163], v[42:43], s[42:43], v[156:157]
	v_fma_f64 v[154:155], v[42:43], s[30:31], v[156:157]
	v_mul_f64 v[156:157], v[152:153], s[36:37]
	v_add_f64 v[162:163], v[162:163], v[214:215]
	v_add_f64 v[154:155], v[154:155], v[158:159]
	v_fma_f64 v[158:159], v[20:21], s[22:23], v[156:157]
	v_fma_f64 v[156:157], v[20:21], s[22:23], -v[156:157]
	v_mul_f64 v[214:215], v[152:153], s[34:35]
	v_mul_f64 v[152:153], v[152:153], s[26:27]
	v_add_f64 v[158:159], v[158:159], v[220:221]
	v_add_f64 v[156:157], v[156:157], v[218:219]
	v_fma_f64 v[218:219], v[20:21], s[16:17], v[214:215]
	v_mul_f64 v[220:221], v[22:23], s[16:17]
	v_fma_f64 v[214:215], v[20:21], s[16:17], -v[214:215]
	v_fma_f64 v[224:225], v[20:21], s[0:1], v[152:153]
	v_mul_f64 v[22:23], v[22:23], s[0:1]
	v_fma_f64 v[20:21], v[20:21], s[0:1], -v[152:153]
	v_add_f64 v[152:153], v[206:207], -v[160:161]
	v_add_f64 v[218:219], v[218:219], v[228:229]
	v_fma_f64 v[222:223], v[42:43], s[14:15], v[220:221]
	v_add_f64 v[214:215], v[214:215], v[226:227]
	v_fma_f64 v[220:221], v[42:43], s[34:35], v[220:221]
	v_fma_f64 v[226:227], v[42:43], s[2:3], v[22:23]
	v_add_f64 v[14:15], v[20:21], v[14:15]
	v_fma_f64 v[20:21], v[42:43], s[26:27], v[22:23]
	v_add_f64 v[22:23], v[206:207], v[160:161]
	v_mul_f64 v[160:161], v[152:153], s[14:15]
	v_add_f64 v[42:43], v[208:209], -v[166:167]
	v_add_f64 v[222:223], v[222:223], v[232:233]
	v_add_f64 v[220:221], v[220:221], v[230:231]
	v_add_f64 v[40:41], v[226:227], v[40:41]
	v_add_f64 v[224:225], v[224:225], v[234:235]
	v_add_f64 v[12:13], v[20:21], v[12:13]
	v_add_f64 v[20:21], v[208:209], v[166:167]
	v_fma_f64 v[166:167], v[20:21], s[16:17], v[160:161]
	v_fma_f64 v[160:161], v[20:21], s[16:17], -v[160:161]
	v_add_f64 v[18:19], v[166:167], v[18:19]
	v_mul_f64 v[166:167], v[22:23], s[16:17]
	v_add_f64 v[16:17], v[160:161], v[16:17]
	v_fma_f64 v[160:161], v[42:43], s[14:15], v[166:167]
	v_fma_f64 v[206:207], v[42:43], s[34:35], v[166:167]
	v_add_f64 v[24:25], v[160:161], v[24:25]
	v_mul_f64 v[160:161], v[152:153], s[30:31]
	v_add_f64 v[26:27], v[206:207], v[26:27]
	v_fma_f64 v[166:167], v[20:21], s[28:29], v[160:161]
	v_fma_f64 v[160:161], v[20:21], s[28:29], -v[160:161]
	v_add_f64 v[30:31], v[166:167], v[30:31]
	v_mul_f64 v[166:167], v[22:23], s[28:29]
	v_add_f64 v[28:29], v[160:161], v[28:29]
	v_fma_f64 v[160:161], v[42:43], s[30:31], v[166:167]
	v_fma_f64 v[206:207], v[42:43], s[42:43], v[166:167]
	v_add_f64 v[32:33], v[160:161], v[32:33]
	v_mul_f64 v[160:161], v[152:153], s[38:39]
	v_add_f64 v[34:35], v[206:207], v[34:35]
	v_fma_f64 v[166:167], v[20:21], s[18:19], v[160:161]
	v_fma_f64 v[160:161], v[20:21], s[18:19], -v[160:161]
	v_add_f64 v[38:39], v[166:167], v[38:39]
	v_mul_f64 v[166:167], v[22:23], s[18:19]
	v_add_f64 v[36:37], v[160:161], v[36:37]
	v_fma_f64 v[160:161], v[42:43], s[38:39], v[166:167]
	v_fma_f64 v[206:207], v[42:43], s[20:21], v[166:167]
	v_add_f64 v[154:155], v[160:161], v[154:155]
	v_mul_f64 v[160:161], v[152:153], s[26:27]
	v_add_f64 v[162:163], v[206:207], v[162:163]
	v_fma_f64 v[166:167], v[20:21], s[0:1], v[160:161]
	v_fma_f64 v[160:161], v[20:21], s[0:1], -v[160:161]
	v_add_f64 v[158:159], v[166:167], v[158:159]
	v_mul_f64 v[166:167], v[22:23], s[0:1]
	v_add_f64 v[156:157], v[160:161], v[156:157]
	v_fma_f64 v[206:207], v[42:43], s[2:3], v[166:167]
	v_fma_f64 v[160:161], v[42:43], s[26:27], v[166:167]
	v_mul_f64 v[166:167], v[152:153], s[12:13]
	v_mul_f64 v[152:153], v[152:153], s[24:25]
	v_add_f64 v[206:207], v[206:207], v[212:213]
	v_add_f64 v[160:161], v[160:161], v[210:211]
	v_fma_f64 v[208:209], v[20:21], s[6:7], v[166:167]
	v_fma_f64 v[166:167], v[20:21], s[6:7], -v[166:167]
	v_mul_f64 v[210:211], v[22:23], s[6:7]
	v_mul_f64 v[22:23], v[22:23], s[22:23]
	v_add_f64 v[208:209], v[208:209], v[218:219]
	v_add_f64 v[166:167], v[166:167], v[214:215]
	v_fma_f64 v[214:215], v[20:21], s[22:23], v[152:153]
	v_fma_f64 v[20:21], v[20:21], s[22:23], -v[152:153]
	v_add_f64 v[152:153], v[186:187], -v[164:165]
	v_fma_f64 v[218:219], v[42:43], s[36:37], v[22:23]
	v_fma_f64 v[212:213], v[42:43], s[40:41], v[210:211]
	;; [unrolled: 1-line block ×3, first 2 shown]
	v_add_f64 v[214:215], v[214:215], v[224:225]
	v_add_f64 v[14:15], v[20:21], v[14:15]
	v_fma_f64 v[20:21], v[42:43], s[24:25], v[22:23]
	v_add_f64 v[22:23], v[186:187], v[164:165]
	v_mul_f64 v[164:165], v[152:153], s[20:21]
	v_add_f64 v[42:43], v[204:205], -v[170:171]
	v_add_f64 v[40:41], v[218:219], v[40:41]
	v_add_f64 v[210:211], v[210:211], v[220:221]
	;; [unrolled: 1-line block ×3, first 2 shown]
	v_add_f64 v[224:225], v[176:177], -v[172:173]
	v_add_f64 v[12:13], v[20:21], v[12:13]
	v_add_f64 v[20:21], v[204:205], v[170:171]
	v_mul_f64 v[204:205], v[22:23], s[28:29]
	v_add_f64 v[220:221], v[176:177], v[172:173]
	v_add_f64 v[222:223], v[180:181], -v[178:179]
	v_fma_f64 v[170:171], v[20:21], s[18:19], v[164:165]
	v_fma_f64 v[164:165], v[20:21], s[18:19], -v[164:165]
	v_add_f64 v[18:19], v[170:171], v[18:19]
	v_mul_f64 v[170:171], v[22:23], s[18:19]
	v_add_f64 v[16:17], v[164:165], v[16:17]
	v_fma_f64 v[164:165], v[42:43], s[20:21], v[170:171]
	v_fma_f64 v[186:187], v[42:43], s[38:39], v[170:171]
	v_add_f64 v[24:25], v[164:165], v[24:25]
	v_mul_f64 v[164:165], v[152:153], s[36:37]
	v_add_f64 v[26:27], v[186:187], v[26:27]
	v_fma_f64 v[170:171], v[20:21], s[22:23], v[164:165]
	v_fma_f64 v[164:165], v[20:21], s[22:23], -v[164:165]
	v_add_f64 v[30:31], v[170:171], v[30:31]
	v_mul_f64 v[170:171], v[22:23], s[22:23]
	v_add_f64 v[28:29], v[164:165], v[28:29]
	v_fma_f64 v[164:165], v[42:43], s[36:37], v[170:171]
	v_fma_f64 v[186:187], v[42:43], s[24:25], v[170:171]
	v_add_f64 v[32:33], v[164:165], v[32:33]
	v_mul_f64 v[164:165], v[152:153], s[26:27]
	v_add_f64 v[34:35], v[186:187], v[34:35]
	;; [unrolled: 10-line block ×3, first 2 shown]
	v_fma_f64 v[170:171], v[20:21], s[16:17], v[164:165]
	v_fma_f64 v[164:165], v[20:21], s[16:17], -v[164:165]
	v_add_f64 v[158:159], v[170:171], v[158:159]
	v_mul_f64 v[170:171], v[22:23], s[16:17]
	v_add_f64 v[156:157], v[164:165], v[156:157]
	v_mul_f64 v[22:23], v[22:23], s[6:7]
	v_fma_f64 v[164:165], v[42:43], s[14:15], v[170:171]
	v_fma_f64 v[186:187], v[42:43], s[34:35], v[170:171]
	v_add_f64 v[160:161], v[164:165], v[160:161]
	v_mul_f64 v[164:165], v[152:153], s[42:43]
	v_mul_f64 v[152:153], v[152:153], s[40:41]
	v_add_f64 v[186:187], v[186:187], v[206:207]
	v_fma_f64 v[206:207], v[42:43], s[30:31], v[204:205]
	v_fma_f64 v[170:171], v[20:21], s[28:29], v[164:165]
	v_fma_f64 v[164:165], v[20:21], s[28:29], -v[164:165]
	v_add_f64 v[206:207], v[206:207], v[212:213]
	v_add_f64 v[170:171], v[170:171], v[208:209]
	;; [unrolled: 1-line block ×3, first 2 shown]
	v_fma_f64 v[166:167], v[42:43], s[42:43], v[204:205]
	v_fma_f64 v[204:205], v[20:21], s[6:7], v[152:153]
	v_fma_f64 v[20:21], v[20:21], s[6:7], -v[152:153]
	v_add_f64 v[152:153], v[182:183], -v[168:169]
	v_fma_f64 v[208:209], v[42:43], s[12:13], v[22:23]
	v_add_f64 v[166:167], v[166:167], v[210:211]
	v_add_f64 v[204:205], v[204:205], v[214:215]
	;; [unrolled: 1-line block ×3, first 2 shown]
	v_fma_f64 v[20:21], v[42:43], s[40:41], v[22:23]
	v_add_f64 v[22:23], v[182:183], v[168:169]
	v_mul_f64 v[168:169], v[152:153], s[24:25]
	v_add_f64 v[42:43], v[184:185], -v[174:175]
	v_add_f64 v[40:41], v[208:209], v[40:41]
	v_add_f64 v[12:13], v[20:21], v[12:13]
	;; [unrolled: 1-line block ×3, first 2 shown]
	v_fma_f64 v[174:175], v[20:21], s[22:23], v[168:169]
	v_fma_f64 v[168:169], v[20:21], s[22:23], -v[168:169]
	v_add_f64 v[18:19], v[174:175], v[18:19]
	v_mul_f64 v[174:175], v[22:23], s[22:23]
	v_add_f64 v[16:17], v[168:169], v[16:17]
	v_fma_f64 v[168:169], v[42:43], s[24:25], v[174:175]
	v_fma_f64 v[182:183], v[42:43], s[36:37], v[174:175]
	v_add_f64 v[24:25], v[168:169], v[24:25]
	v_mul_f64 v[168:169], v[152:153], s[34:35]
	v_add_f64 v[26:27], v[182:183], v[26:27]
	v_fma_f64 v[174:175], v[20:21], s[16:17], v[168:169]
	v_fma_f64 v[168:169], v[20:21], s[16:17], -v[168:169]
	v_add_f64 v[30:31], v[174:175], v[30:31]
	v_mul_f64 v[174:175], v[22:23], s[16:17]
	v_add_f64 v[28:29], v[168:169], v[28:29]
	v_fma_f64 v[168:169], v[42:43], s[34:35], v[174:175]
	v_fma_f64 v[182:183], v[42:43], s[14:15], v[174:175]
	v_add_f64 v[32:33], v[168:169], v[32:33]
	v_mul_f64 v[168:169], v[152:153], s[12:13]
	v_add_f64 v[34:35], v[182:183], v[34:35]
	v_fma_f64 v[174:175], v[20:21], s[6:7], v[168:169]
	v_add_f64 v[38:39], v[174:175], v[38:39]
	v_mul_f64 v[174:175], v[22:23], s[6:7]
	v_fma_f64 v[182:183], v[42:43], s[40:41], v[174:175]
	v_add_f64 v[182:183], v[182:183], v[162:163]
	v_fma_f64 v[162:163], v[20:21], s[6:7], -v[168:169]
	v_add_f64 v[36:37], v[162:163], v[36:37]
	v_fma_f64 v[162:163], v[42:43], s[12:13], v[174:175]
	v_add_f64 v[174:175], v[162:163], v[154:155]
	v_mul_f64 v[154:155], v[152:153], s[42:43]
	v_fma_f64 v[162:163], v[20:21], s[28:29], v[154:155]
	v_fma_f64 v[154:155], v[20:21], s[28:29], -v[154:155]
	v_add_f64 v[184:185], v[162:163], v[158:159]
	v_mul_f64 v[158:159], v[22:23], s[28:29]
	v_add_f64 v[208:209], v[154:155], v[156:157]
	v_fma_f64 v[154:155], v[42:43], s[42:43], v[158:159]
	v_fma_f64 v[162:163], v[42:43], s[30:31], v[158:159]
	v_add_f64 v[210:211], v[154:155], v[160:161]
	v_mul_f64 v[154:155], v[152:153], s[26:27]
	v_mul_f64 v[152:153], v[152:153], s[20:21]
	v_add_f64 v[186:187], v[162:163], v[186:187]
	v_fma_f64 v[156:157], v[20:21], s[0:1], v[154:155]
	v_fma_f64 v[154:155], v[20:21], s[0:1], -v[154:155]
	v_add_f64 v[212:213], v[156:157], v[170:171]
	v_mul_f64 v[156:157], v[22:23], s[0:1]
	v_add_f64 v[214:215], v[154:155], v[164:165]
	v_mul_f64 v[22:23], v[22:23], s[18:19]
	v_fma_f64 v[154:155], v[42:43], s[26:27], v[156:157]
	v_fma_f64 v[158:159], v[42:43], s[2:3], v[156:157]
	v_add_f64 v[218:219], v[154:155], v[166:167]
	v_fma_f64 v[154:155], v[20:21], s[18:19], v[152:153]
	v_fma_f64 v[20:21], v[20:21], s[18:19], -v[152:153]
	v_mul_f64 v[152:153], v[224:225], s[30:31]
	v_add_f64 v[206:207], v[158:159], v[206:207]
	v_add_f64 v[204:205], v[154:155], v[204:205]
	v_fma_f64 v[154:155], v[42:43], s[38:39], v[22:23]
	v_add_f64 v[20:21], v[20:21], v[14:15]
	v_fma_f64 v[14:15], v[42:43], s[20:21], v[22:23]
	v_add_f64 v[42:43], v[180:181], v[178:179]
	v_add_f64 v[40:41], v[154:155], v[40:41]
	v_add_f64 v[22:23], v[14:15], v[12:13]
	v_fma_f64 v[12:13], v[42:43], s[28:29], v[152:153]
	v_add_f64 v[12:13], v[12:13], v[18:19]
	v_mul_f64 v[18:19], v[220:221], s[28:29]
	v_fma_f64 v[14:15], v[222:223], s[42:43], v[18:19]
	v_add_f64 v[14:15], v[14:15], v[26:27]
	v_fma_f64 v[26:27], v[42:43], s[28:29], -v[152:153]
	v_add_f64 v[152:153], v[26:27], v[16:17]
	v_fma_f64 v[16:17], v[222:223], s[30:31], v[18:19]
	v_add_f64 v[154:155], v[16:17], v[24:25]
	v_mul_f64 v[16:17], v[224:225], s[26:27]
	v_fma_f64 v[18:19], v[42:43], s[0:1], v[16:17]
	v_fma_f64 v[16:17], v[42:43], s[0:1], -v[16:17]
	v_add_f64 v[156:157], v[18:19], v[30:31]
	v_mul_f64 v[18:19], v[220:221], s[0:1]
	v_add_f64 v[160:161], v[16:17], v[28:29]
	v_fma_f64 v[16:17], v[222:223], s[26:27], v[18:19]
	v_fma_f64 v[24:25], v[222:223], s[2:3], v[18:19]
	v_add_f64 v[162:163], v[16:17], v[32:33]
	v_mul_f64 v[16:17], v[224:225], s[24:25]
	v_add_f64 v[158:159], v[24:25], v[34:35]
	v_fma_f64 v[18:19], v[42:43], s[22:23], v[16:17]
	v_fma_f64 v[16:17], v[42:43], s[22:23], -v[16:17]
	v_add_f64 v[164:165], v[18:19], v[38:39]
	v_mul_f64 v[18:19], v[220:221], s[22:23]
	v_add_f64 v[168:169], v[16:17], v[36:37]
	v_fma_f64 v[16:17], v[222:223], s[24:25], v[18:19]
	v_fma_f64 v[24:25], v[222:223], s[36:37], v[18:19]
	v_add_f64 v[170:171], v[16:17], v[174:175]
	v_mul_f64 v[16:17], v[224:225], s[40:41]
	v_add_f64 v[166:167], v[24:25], v[182:183]
	;; [unrolled: 10-line block ×4, first 2 shown]
	v_fma_f64 v[18:19], v[42:43], s[16:17], v[16:17]
	v_fma_f64 v[16:17], v[42:43], s[16:17], -v[16:17]
	v_add_f64 v[204:205], v[18:19], v[204:205]
	v_mul_f64 v[18:19], v[220:221], s[16:17]
	v_add_f64 v[208:209], v[16:17], v[20:21]
	v_fma_f64 v[24:25], v[222:223], s[14:15], v[18:19]
	v_fma_f64 v[16:17], v[222:223], s[34:35], v[18:19]
	v_add_f64 v[206:207], v[24:25], v[40:41]
	v_add_f64 v[210:211], v[16:17], v[22:23]
	ds_write_b128 v217, v[148:151]
	ds_write_b128 v217, v[12:15] offset:64
	ds_write_b128 v217, v[156:159] offset:128
	;; [unrolled: 1-line block ×12, first 2 shown]
	s_and_saveexec_b64 s[44:45], vcc
	s_cbranch_execz .LBB0_9
; %bb.8:
	buffer_load_dword v20, off, s[52:55], 0 offset:136 ; 4-byte Folded Reload
	buffer_load_dword v21, off, s[52:55], 0 offset:140 ; 4-byte Folded Reload
	buffer_load_dword v22, off, s[52:55], 0 offset:144 ; 4-byte Folded Reload
	buffer_load_dword v23, off, s[52:55], 0 offset:148 ; 4-byte Folded Reload
	buffer_load_dword v24, off, s[52:55], 0 offset:152 ; 4-byte Folded Reload
	buffer_load_dword v25, off, s[52:55], 0 offset:156 ; 4-byte Folded Reload
	buffer_load_dword v26, off, s[52:55], 0 offset:160 ; 4-byte Folded Reload
	buffer_load_dword v27, off, s[52:55], 0 offset:164 ; 4-byte Folded Reload
	v_mul_f64 v[12:13], v[114:115], v[238:239]
	v_mul_f64 v[14:15], v[114:115], v[236:237]
	v_fma_f64 v[150:151], v[112:113], v[236:237], v[12:13]
	v_mul_f64 v[12:13], v[102:103], v[10:11]
	v_fma_f64 v[140:141], v[112:113], v[238:239], -v[14:15]
	v_fma_f64 v[148:149], v[100:101], v[8:9], v[12:13]
	v_mul_f64 v[8:9], v[102:103], v[8:9]
	v_add_f64 v[160:161], v[150:151], -v[148:149]
	v_fma_f64 v[142:143], v[100:101], v[10:11], -v[8:9]
	v_mul_f64 v[10:11], v[110:111], v[86:87]
	v_add_f64 v[106:107], v[150:151], v[148:149]
	v_mul_f64 v[12:13], v[160:161], s[34:35]
	v_add_f64 v[156:157], v[140:141], v[142:143]
	v_fma_f64 v[138:139], v[108:109], v[84:85], v[10:11]
	v_mul_f64 v[10:11], v[132:133], v[94:95]
	v_add_f64 v[184:185], v[140:141], -v[142:143]
	v_fma_f64 v[8:9], v[156:157], s[16:17], v[12:13]
	v_fma_f64 v[12:13], v[156:157], s[16:17], -v[12:13]
	v_fma_f64 v[136:137], v[130:131], v[92:93], v[10:11]
	v_mul_f64 v[10:11], v[110:111], v[84:85]
	v_add_f64 v[164:165], v[138:139], -v[136:137]
	v_fma_f64 v[152:153], v[108:109], v[86:87], -v[10:11]
	v_mul_f64 v[10:11], v[132:133], v[92:93]
	v_add_f64 v[174:175], v[138:139], v[136:137]
	v_mul_f64 v[14:15], v[164:165], s[20:21]
	v_fma_f64 v[128:129], v[130:131], v[94:95], -v[10:11]
	v_add_f64 v[158:159], v[152:153], v[128:129]
	v_add_f64 v[186:187], v[152:153], -v[128:129]
	v_fma_f64 v[10:11], v[158:159], s[18:19], v[14:15]
	s_waitcnt vmcnt(4)
	v_mul_f64 v[16:17], v[22:23], v[78:79]
	v_mul_f64 v[18:19], v[22:23], v[76:77]
	v_fma_f64 v[14:15], v[158:159], s[18:19], -v[14:15]
	v_fma_f64 v[126:127], v[20:21], v[76:77], v[16:17]
	s_waitcnt vmcnt(0)
	v_mul_f64 v[16:17], v[26:27], v[90:91]
	v_fma_f64 v[154:155], v[20:21], v[78:79], -v[18:19]
	v_mul_f64 v[18:19], v[26:27], v[88:89]
	v_fma_f64 v[124:125], v[24:25], v[88:89], v[16:17]
	v_fma_f64 v[130:131], v[24:25], v[90:91], -v[18:19]
	buffer_load_dword v24, off, s[52:55], 0 offset:104 ; 4-byte Folded Reload
	buffer_load_dword v25, off, s[52:55], 0 offset:108 ; 4-byte Folded Reload
	;; [unrolled: 1-line block ×12, first 2 shown]
	v_add_f64 v[166:167], v[126:127], -v[124:125]
	v_add_f64 v[176:177], v[126:127], v[124:125]
	v_add_f64 v[134:135], v[154:155], v[130:131]
	v_add_f64 v[204:205], v[154:155], -v[130:131]
	v_mul_f64 v[16:17], v[166:167], s[40:41]
	v_fma_f64 v[18:19], v[134:135], s[6:7], v[16:17]
	v_fma_f64 v[16:17], v[134:135], s[6:7], -v[16:17]
	s_waitcnt vmcnt(8)
	v_mul_f64 v[20:21], v[26:27], v[74:75]
	v_mul_f64 v[22:23], v[26:27], v[72:73]
	s_waitcnt vmcnt(0)
	v_mul_f64 v[26:27], v[34:35], v[68:69]
	v_fma_f64 v[114:115], v[24:25], v[72:73], v[20:21]
	v_mul_f64 v[20:21], v[30:31], v[82:83]
	v_fma_f64 v[132:133], v[24:25], v[74:75], -v[22:23]
	v_mul_f64 v[22:23], v[30:31], v[80:81]
	v_mul_f64 v[24:25], v[34:35], v[70:71]
	v_fma_f64 v[122:123], v[32:33], v[70:71], -v[26:27]
	v_fma_f64 v[112:113], v[28:29], v[80:81], v[20:21]
	v_fma_f64 v[120:121], v[28:29], v[82:83], -v[22:23]
	buffer_load_dword v28, off, s[52:55], 0 offset:24 ; 4-byte Folded Reload
	buffer_load_dword v29, off, s[52:55], 0 offset:28 ; 4-byte Folded Reload
	buffer_load_dword v30, off, s[52:55], 0 offset:32 ; 4-byte Folded Reload
	buffer_load_dword v31, off, s[52:55], 0 offset:36 ; 4-byte Folded Reload
	buffer_load_dword v36, off, s[52:55], 0 offset:88 ; 4-byte Folded Reload
	buffer_load_dword v37, off, s[52:55], 0 offset:92 ; 4-byte Folded Reload
	buffer_load_dword v38, off, s[52:55], 0 offset:96 ; 4-byte Folded Reload
	buffer_load_dword v39, off, s[52:55], 0 offset:100 ; 4-byte Folded Reload
	v_fma_f64 v[110:111], v[32:33], v[68:69], v[24:25]
	v_add_f64 v[168:169], v[114:115], -v[112:113]
	v_add_f64 v[178:179], v[114:115], v[112:113]
	v_add_f64 v[162:163], v[132:133], v[120:121]
	v_add_f64 v[206:207], v[132:133], -v[120:121]
	v_mul_f64 v[20:21], v[168:169], s[24:25]
	v_fma_f64 v[22:23], v[162:163], s[22:23], v[20:21]
	v_fma_f64 v[20:21], v[162:163], s[22:23], -v[20:21]
	s_waitcnt vmcnt(0)
	v_mul_f64 v[24:25], v[38:39], v[30:31]
	v_mul_f64 v[26:27], v[38:39], v[28:29]
	v_fma_f64 v[108:109], v[36:37], v[28:29], v[24:25]
	v_fma_f64 v[102:103], v[36:37], v[30:31], -v[26:27]
	buffer_load_dword v36, off, s[52:55], 0 offset:40 ; 4-byte Folded Reload
	buffer_load_dword v37, off, s[52:55], 0 offset:44 ; 4-byte Folded Reload
	;; [unrolled: 1-line block ×12, first 2 shown]
	v_add_f64 v[170:171], v[110:111], -v[108:109]
	v_add_f64 v[118:119], v[122:123], v[102:103]
	v_add_f64 v[208:209], v[122:123], -v[102:103]
	v_add_f64 v[180:181], v[110:111], v[108:109]
	v_mul_f64 v[24:25], v[170:171], s[26:27]
	v_fma_f64 v[26:27], v[118:119], s[0:1], v[24:25]
	v_fma_f64 v[24:25], v[118:119], s[0:1], -v[24:25]
	s_waitcnt vmcnt(8)
	v_mul_f64 v[28:29], v[38:39], v[66:67]
	v_mul_f64 v[30:31], v[38:39], v[64:65]
	v_mul_f64 v[38:39], v[208:209], s[26:27]
	v_fma_f64 v[116:117], v[36:37], v[64:65], v[28:29]
	s_waitcnt vmcnt(0)
	v_mul_f64 v[28:29], v[42:43], v[34:35]
	v_fma_f64 v[96:97], v[36:37], v[66:67], -v[30:31]
	v_mul_f64 v[30:31], v[42:43], v[32:33]
	v_fma_f64 v[100:101], v[40:41], v[32:33], v[28:29]
	v_fma_f64 v[98:99], v[40:41], v[34:35], -v[30:31]
	v_mul_f64 v[34:35], v[206:207], s[24:25]
	v_fma_f64 v[40:41], v[180:181], s[0:1], -v[38:39]
	v_add_f64 v[172:173], v[116:117], -v[100:101]
	v_add_f64 v[182:183], v[116:117], v[100:101]
	v_add_f64 v[104:105], v[96:97], v[98:99]
	v_add_f64 v[210:211], v[96:97], -v[98:99]
	v_fma_f64 v[36:37], v[178:179], s[22:23], -v[34:35]
	v_mul_f64 v[28:29], v[172:173], s[30:31]
	v_mul_f64 v[42:43], v[210:211], s[30:31]
	;; [unrolled: 1-line block ×6, first 2 shown]
	v_fma_f64 v[30:31], v[104:105], s[28:29], v[28:29]
	v_fma_f64 v[64:65], v[182:183], s[28:29], -v[42:43]
	v_fma_f64 v[68:69], v[182:183], s[22:23], -v[72:73]
	;; [unrolled: 1-line block ×5, first 2 shown]
	v_add_f64 v[30:31], v[62:63], v[30:31]
	v_add_f64 v[64:65], v[60:61], v[64:65]
	;; [unrolled: 1-line block ×7, first 2 shown]
	v_mul_f64 v[30:31], v[204:205], s[40:41]
	v_add_f64 v[40:41], v[40:41], v[64:65]
	v_add_f64 v[22:23], v[22:23], v[26:27]
	v_fma_f64 v[32:33], v[176:177], s[6:7], -v[30:31]
	v_add_f64 v[36:37], v[36:37], v[40:41]
	v_mul_f64 v[40:41], v[208:209], s[34:35]
	v_add_f64 v[18:19], v[18:19], v[22:23]
	v_mul_f64 v[22:23], v[186:187], s[20:21]
	;; [unrolled: 2-line block ×4, first 2 shown]
	v_fma_f64 v[26:27], v[174:175], s[18:19], -v[22:23]
	v_add_f64 v[10:11], v[8:9], v[10:11]
	v_fma_f64 v[8:9], v[106:107], s[16:17], -v[18:19]
	v_add_f64 v[26:27], v[26:27], v[32:33]
	v_mul_f64 v[32:33], v[172:173], s[24:25]
	v_add_f64 v[8:9], v[8:9], v[26:27]
	v_fma_f64 v[26:27], v[104:105], s[28:29], -v[28:29]
	v_mul_f64 v[28:29], v[170:171], s[34:35]
	v_add_f64 v[26:27], v[62:63], v[26:27]
	v_add_f64 v[24:25], v[24:25], v[26:27]
	v_add_f64 v[20:21], v[20:21], v[24:25]
	v_mul_f64 v[24:25], v[168:169], s[12:13]
	v_add_f64 v[16:17], v[16:17], v[20:21]
	v_fma_f64 v[20:21], v[180:181], s[0:1], v[38:39]
	v_fma_f64 v[26:27], v[162:163], s[6:7], v[24:25]
	v_fma_f64 v[38:39], v[178:179], s[6:7], -v[36:37]
	v_add_f64 v[14:15], v[14:15], v[16:17]
	v_fma_f64 v[16:17], v[176:177], s[6:7], v[30:31]
	v_fma_f64 v[30:31], v[118:119], s[16:17], v[28:29]
	v_add_f64 v[66:67], v[12:13], v[14:15]
	v_fma_f64 v[14:15], v[174:175], s[18:19], v[22:23]
	v_fma_f64 v[22:23], v[182:183], s[28:29], v[42:43]
	;; [unrolled: 1-line block ×5, first 2 shown]
	v_fma_f64 v[42:43], v[180:181], s[16:17], -v[40:41]
	v_add_f64 v[22:23], v[60:61], v[22:23]
	v_add_f64 v[34:35], v[62:63], v[34:35]
	;; [unrolled: 1-line block ×7, first 2 shown]
	v_mul_f64 v[20:21], v[166:167], s[42:43]
	v_add_f64 v[26:27], v[26:27], v[30:31]
	v_mul_f64 v[30:31], v[204:205], s[42:43]
	v_add_f64 v[16:17], v[16:17], v[18:19]
	v_fma_f64 v[22:23], v[134:135], s[28:29], v[20:21]
	v_fma_f64 v[34:35], v[176:177], s[28:29], -v[30:31]
	v_add_f64 v[14:15], v[14:15], v[16:17]
	v_mul_f64 v[16:17], v[164:165], s[26:27]
	v_add_f64 v[22:23], v[22:23], v[26:27]
	v_add_f64 v[34:35], v[34:35], v[38:39]
	v_add_f64 v[64:65], v[12:13], v[14:15]
	v_mul_f64 v[12:13], v[160:161], s[20:21]
	v_fma_f64 v[18:19], v[158:159], s[0:1], v[16:17]
	v_fma_f64 v[16:17], v[158:159], s[0:1], -v[16:17]
	v_fma_f64 v[14:15], v[156:157], s[18:19], v[12:13]
	v_add_f64 v[18:19], v[18:19], v[22:23]
	v_mul_f64 v[22:23], v[186:187], s[26:27]
	v_fma_f64 v[12:13], v[156:157], s[18:19], -v[12:13]
	v_add_f64 v[70:71], v[14:15], v[18:19]
	v_mul_f64 v[14:15], v[184:185], s[20:21]
	v_fma_f64 v[26:27], v[174:175], s[0:1], -v[22:23]
	v_fma_f64 v[18:19], v[106:107], s[18:19], -v[14:15]
	v_add_f64 v[26:27], v[26:27], v[34:35]
	v_add_f64 v[68:69], v[18:19], v[26:27]
	v_fma_f64 v[26:27], v[104:105], s[22:23], -v[32:33]
	v_fma_f64 v[18:19], v[134:135], s[28:29], -v[20:21]
	v_fma_f64 v[20:21], v[162:163], s[6:7], -v[24:25]
	v_fma_f64 v[24:25], v[118:119], s[16:17], -v[28:29]
	v_mul_f64 v[32:33], v[172:173], s[20:21]
	v_mul_f64 v[28:29], v[170:171], s[36:37]
	v_add_f64 v[26:27], v[62:63], v[26:27]
	v_fma_f64 v[34:35], v[104:105], s[18:19], v[32:33]
	v_add_f64 v[24:25], v[24:25], v[26:27]
	v_add_f64 v[34:35], v[62:63], v[34:35]
	v_add_f64 v[20:21], v[20:21], v[24:25]
	v_mul_f64 v[24:25], v[168:169], s[26:27]
	v_add_f64 v[18:19], v[18:19], v[20:21]
	v_fma_f64 v[20:21], v[180:181], s[16:17], v[40:41]
	v_fma_f64 v[26:27], v[162:163], s[0:1], v[24:25]
	v_mul_f64 v[40:41], v[208:209], s[36:37]
	v_add_f64 v[16:17], v[16:17], v[18:19]
	v_fma_f64 v[18:19], v[178:179], s[6:7], v[36:37]
	v_mul_f64 v[36:37], v[206:207], s[26:27]
	v_fma_f64 v[42:43], v[180:181], s[22:23], -v[40:41]
	v_add_f64 v[74:75], v[12:13], v[16:17]
	v_fma_f64 v[12:13], v[106:107], s[18:19], v[14:15]
	v_fma_f64 v[14:15], v[174:175], s[0:1], v[22:23]
	v_fma_f64 v[22:23], v[182:183], s[22:23], v[72:73]
	v_fma_f64 v[16:17], v[176:177], s[28:29], v[30:31]
	v_fma_f64 v[30:31], v[118:119], s[22:23], v[28:29]
	v_fma_f64 v[38:39], v[178:179], s[0:1], -v[36:37]
	v_add_f64 v[42:43], v[42:43], v[76:77]
	v_add_f64 v[22:23], v[60:61], v[22:23]
	v_add_f64 v[30:31], v[30:31], v[34:35]
	v_add_f64 v[38:39], v[38:39], v[42:43]
	v_add_f64 v[20:21], v[20:21], v[22:23]
	v_add_f64 v[26:27], v[26:27], v[30:31]
	v_mul_f64 v[30:31], v[204:205], s[14:15]
	v_add_f64 v[18:19], v[18:19], v[20:21]
	v_mul_f64 v[20:21], v[166:167], s[14:15]
	v_fma_f64 v[34:35], v[176:177], s[16:17], -v[30:31]
	v_add_f64 v[16:17], v[16:17], v[18:19]
	v_fma_f64 v[22:23], v[134:135], s[16:17], v[20:21]
	v_add_f64 v[34:35], v[34:35], v[38:39]
	v_add_f64 v[14:15], v[14:15], v[16:17]
	v_mul_f64 v[16:17], v[164:165], s[42:43]
	v_add_f64 v[22:23], v[22:23], v[26:27]
	v_add_f64 v[72:73], v[12:13], v[14:15]
	v_mul_f64 v[12:13], v[160:161], s[40:41]
	v_fma_f64 v[18:19], v[158:159], s[28:29], v[16:17]
	v_fma_f64 v[16:17], v[158:159], s[28:29], -v[16:17]
	v_fma_f64 v[14:15], v[156:157], s[6:7], v[12:13]
	v_add_f64 v[18:19], v[18:19], v[22:23]
	v_mul_f64 v[22:23], v[186:187], s[42:43]
	v_fma_f64 v[12:13], v[156:157], s[6:7], -v[12:13]
	v_add_f64 v[78:79], v[14:15], v[18:19]
	v_mul_f64 v[14:15], v[184:185], s[40:41]
	v_fma_f64 v[26:27], v[174:175], s[28:29], -v[22:23]
	v_fma_f64 v[18:19], v[106:107], s[6:7], -v[14:15]
	v_add_f64 v[26:27], v[26:27], v[34:35]
	v_add_f64 v[76:77], v[18:19], v[26:27]
	v_fma_f64 v[26:27], v[104:105], s[18:19], -v[32:33]
	v_fma_f64 v[18:19], v[134:135], s[16:17], -v[20:21]
	v_fma_f64 v[20:21], v[162:163], s[0:1], -v[24:25]
	v_fma_f64 v[24:25], v[118:119], s[22:23], -v[28:29]
	v_mul_f64 v[32:33], v[172:173], s[14:15]
	v_mul_f64 v[28:29], v[170:171], s[30:31]
	v_add_f64 v[26:27], v[62:63], v[26:27]
	v_fma_f64 v[34:35], v[104:105], s[16:17], v[32:33]
	v_add_f64 v[24:25], v[24:25], v[26:27]
	v_add_f64 v[34:35], v[62:63], v[34:35]
	v_add_f64 v[20:21], v[20:21], v[24:25]
	v_mul_f64 v[24:25], v[168:169], s[38:39]
	v_add_f64 v[18:19], v[18:19], v[20:21]
	v_fma_f64 v[20:21], v[180:181], s[22:23], v[40:41]
	v_fma_f64 v[26:27], v[162:163], s[18:19], v[24:25]
	v_mul_f64 v[40:41], v[208:209], s[30:31]
	v_add_f64 v[16:17], v[16:17], v[18:19]
	v_fma_f64 v[18:19], v[178:179], s[0:1], v[36:37]
	v_mul_f64 v[36:37], v[206:207], s[38:39]
	v_fma_f64 v[42:43], v[180:181], s[28:29], -v[40:41]
	v_add_f64 v[82:83], v[12:13], v[16:17]
	v_fma_f64 v[12:13], v[106:107], s[6:7], v[14:15]
	v_fma_f64 v[14:15], v[174:175], s[28:29], v[22:23]
	v_fma_f64 v[22:23], v[182:183], s[18:19], v[80:81]
	v_fma_f64 v[16:17], v[176:177], s[16:17], v[30:31]
	v_fma_f64 v[30:31], v[118:119], s[28:29], v[28:29]
	v_fma_f64 v[38:39], v[178:179], s[18:19], -v[36:37]
	v_add_f64 v[42:43], v[42:43], v[84:85]
	v_add_f64 v[22:23], v[60:61], v[22:23]
	v_add_f64 v[30:31], v[30:31], v[34:35]
	v_add_f64 v[38:39], v[38:39], v[42:43]
	v_add_f64 v[20:21], v[20:21], v[22:23]
	v_add_f64 v[26:27], v[26:27], v[30:31]
	v_mul_f64 v[30:31], v[204:205], s[26:27]
	v_add_f64 v[18:19], v[18:19], v[20:21]
	v_mul_f64 v[20:21], v[166:167], s[26:27]
	v_fma_f64 v[34:35], v[176:177], s[0:1], -v[30:31]
	v_add_f64 v[16:17], v[16:17], v[18:19]
	v_fma_f64 v[22:23], v[134:135], s[0:1], v[20:21]
	v_add_f64 v[34:35], v[34:35], v[38:39]
	v_add_f64 v[14:15], v[14:15], v[16:17]
	v_mul_f64 v[16:17], v[164:165], s[12:13]
	v_add_f64 v[22:23], v[22:23], v[26:27]
	v_add_f64 v[80:81], v[12:13], v[14:15]
	;; [unrolled: 57-line block ×3, first 2 shown]
	v_mul_f64 v[12:13], v[160:161], s[26:27]
	v_fma_f64 v[18:19], v[158:159], s[16:17], v[16:17]
	v_fma_f64 v[14:15], v[156:157], s[0:1], v[12:13]
	v_add_f64 v[18:19], v[18:19], v[22:23]
	v_mul_f64 v[22:23], v[186:187], s[34:35]
	v_fma_f64 v[12:13], v[156:157], s[0:1], -v[12:13]
	v_add_f64 v[94:95], v[14:15], v[18:19]
	v_mul_f64 v[18:19], v[184:185], s[26:27]
	v_fma_f64 v[26:27], v[174:175], s[16:17], -v[22:23]
	v_fma_f64 v[14:15], v[106:107], s[0:1], -v[18:19]
	v_add_f64 v[26:27], v[26:27], v[34:35]
	v_add_f64 v[92:93], v[14:15], v[26:27]
	v_fma_f64 v[26:27], v[104:105], s[6:7], -v[32:33]
	v_fma_f64 v[14:15], v[158:159], s[16:17], -v[16:17]
	;; [unrolled: 1-line block ×5, first 2 shown]
	v_mul_f64 v[32:33], v[170:171], s[12:13]
	v_mul_f64 v[28:29], v[168:169], s[14:15]
	;; [unrolled: 1-line block ×3, first 2 shown]
	v_add_f64 v[26:27], v[62:63], v[26:27]
	v_fma_f64 v[34:35], v[118:119], s[6:7], v[32:33]
	v_fma_f64 v[170:171], v[182:183], s[0:1], -v[168:169]
	v_add_f64 v[24:25], v[24:25], v[26:27]
	v_add_f64 v[170:171], v[60:61], v[170:171]
	;; [unrolled: 1-line block ×3, first 2 shown]
	v_fma_f64 v[24:25], v[182:183], s[6:7], v[212:213]
	v_add_f64 v[16:17], v[16:17], v[20:21]
	v_add_f64 v[24:25], v[60:61], v[24:25]
	v_fma_f64 v[20:21], v[178:179], s[28:29], v[36:37]
	v_mul_f64 v[36:37], v[172:173], s[2:3]
	v_add_f64 v[14:15], v[14:15], v[16:17]
	v_fma_f64 v[16:17], v[174:175], s[16:17], v[22:23]
	v_fma_f64 v[22:23], v[180:181], s[18:19], v[40:41]
	;; [unrolled: 1-line block ×3, first 2 shown]
	v_mul_f64 v[40:41], v[206:207], s[14:15]
	v_add_f64 v[14:15], v[12:13], v[14:15]
	v_fma_f64 v[12:13], v[106:107], s[0:1], v[18:19]
	v_add_f64 v[22:23], v[22:23], v[24:25]
	v_fma_f64 v[18:19], v[176:177], s[22:23], v[30:31]
	v_add_f64 v[38:39], v[62:63], v[38:39]
	v_mul_f64 v[24:25], v[166:167], s[20:21]
	v_fma_f64 v[30:31], v[162:163], s[16:17], v[28:29]
	v_fma_f64 v[42:43], v[178:179], s[16:17], -v[40:41]
	v_add_f64 v[20:21], v[20:21], v[22:23]
	v_add_f64 v[34:35], v[34:35], v[38:39]
	v_fma_f64 v[26:27], v[134:135], s[18:19], v[24:25]
	v_add_f64 v[18:19], v[18:19], v[20:21]
	v_mul_f64 v[20:21], v[164:165], s[24:25]
	v_add_f64 v[30:31], v[30:31], v[34:35]
	v_mul_f64 v[34:35], v[204:205], s[20:21]
	v_add_f64 v[16:17], v[16:17], v[18:19]
	v_fma_f64 v[22:23], v[158:159], s[22:23], v[20:21]
	v_add_f64 v[26:27], v[26:27], v[30:31]
	v_fma_f64 v[38:39], v[176:177], s[18:19], -v[34:35]
	v_fma_f64 v[20:21], v[158:159], s[22:23], -v[20:21]
	v_add_f64 v[12:13], v[12:13], v[16:17]
	v_mul_f64 v[16:17], v[160:161], s[30:31]
	v_mul_f64 v[160:161], v[208:209], s[12:13]
	v_add_f64 v[22:23], v[22:23], v[26:27]
	v_mul_f64 v[26:27], v[186:187], s[24:25]
	v_fma_f64 v[18:19], v[156:157], s[28:29], v[16:17]
	v_fma_f64 v[164:165], v[180:181], s[6:7], -v[160:161]
	v_fma_f64 v[16:17], v[156:157], s[28:29], -v[16:17]
	;; [unrolled: 1-line block ×3, first 2 shown]
	v_add_f64 v[166:167], v[18:19], v[22:23]
	v_add_f64 v[164:165], v[164:165], v[170:171]
	v_mul_f64 v[18:19], v[184:185], s[30:31]
	v_add_f64 v[42:43], v[42:43], v[164:165]
	v_fma_f64 v[22:23], v[106:107], s[28:29], -v[18:19]
	v_add_f64 v[38:39], v[38:39], v[42:43]
	v_add_f64 v[30:31], v[30:31], v[38:39]
	;; [unrolled: 1-line block ×3, first 2 shown]
	v_fma_f64 v[30:31], v[104:105], s[0:1], -v[36:37]
	v_fma_f64 v[22:23], v[134:135], s[18:19], -v[24:25]
	;; [unrolled: 1-line block ×4, first 2 shown]
	v_add_f64 v[30:31], v[62:63], v[30:31]
	v_add_f64 v[28:29], v[28:29], v[30:31]
	;; [unrolled: 1-line block ×4, first 2 shown]
	v_fma_f64 v[24:25], v[180:181], s[6:7], v[160:161]
	v_add_f64 v[20:21], v[20:21], v[22:23]
	v_fma_f64 v[22:23], v[178:179], s[16:17], v[40:41]
	v_add_f64 v[158:159], v[16:17], v[20:21]
	v_fma_f64 v[16:17], v[106:107], s[28:29], v[18:19]
	v_fma_f64 v[18:19], v[174:175], s[22:23], v[26:27]
	;; [unrolled: 1-line block ×4, first 2 shown]
	v_add_f64 v[26:27], v[60:61], v[26:27]
	v_add_f64 v[24:25], v[24:25], v[26:27]
	;; [unrolled: 1-line block ×30, first 2 shown]
	buffer_load_dword v16, off, s[52:55], 0 offset:564 ; 4-byte Folded Reload
	buffer_load_dword v17, off, s[52:55], 0 offset:4 ; 4-byte Folded Reload
	s_waitcnt vmcnt(1)
	v_mul_u32_u24_e32 v16, 52, v16
	s_waitcnt vmcnt(0)
	v_or_b32_e32 v16, v16, v17
	v_lshlrev_b32_e32 v16, 4, v16
	ds_write_b128 v16, v[60:63]
	ds_write_b128 v16, v[156:159] offset:64
	ds_write_b128 v16, v[12:15] offset:128
	ds_write_b128 v16, v[88:91] offset:192
	ds_write_b128 v16, v[80:83] offset:256
	ds_write_b128 v16, v[72:75] offset:320
	ds_write_b128 v16, v[64:67] offset:384
	ds_write_b128 v16, v[8:11] offset:448
	ds_write_b128 v16, v[68:71] offset:512
	ds_write_b128 v16, v[76:79] offset:576
	ds_write_b128 v16, v[84:87] offset:640
	ds_write_b128 v16, v[92:95] offset:704
	ds_write_b128 v16, v[164:167] offset:768
.LBB0_9:
	s_or_b64 exec, exec, s[44:45]
	s_waitcnt lgkmcnt(0)
	; wave barrier
	s_waitcnt lgkmcnt(0)
	ds_read_b128 v[8:11], v216 offset:9984
	ds_read_b128 v[12:15], v216 offset:10816
	s_mov_b32 s0, 0xe8584caa
	s_mov_b32 s1, 0xbfebb67a
	;; [unrolled: 1-line block ×3, first 2 shown]
	s_waitcnt lgkmcnt(1)
	v_mul_f64 v[16:17], v[146:147], v[10:11]
	s_mov_b32 s2, s0
	v_fma_f64 v[16:17], v[144:145], v[8:9], v[16:17]
	v_mul_f64 v[8:9], v[146:147], v[8:9]
	v_fma_f64 v[18:19], v[144:145], v[10:11], -v[8:9]
	s_waitcnt lgkmcnt(0)
	v_mul_f64 v[8:9], v[146:147], v[14:15]
	v_fma_f64 v[20:21], v[144:145], v[12:13], v[8:9]
	v_mul_f64 v[8:9], v[146:147], v[12:13]
	v_fma_f64 v[22:23], v[144:145], v[14:15], -v[8:9]
	ds_read_b128 v[8:11], v216 offset:11648
	ds_read_b128 v[12:15], v216 offset:12480
	buffer_load_dword v26, off, s[52:55], 0 offset:628 ; 4-byte Folded Reload
	buffer_load_dword v27, off, s[52:55], 0 offset:632 ; 4-byte Folded Reload
	;; [unrolled: 1-line block ×8, first 2 shown]
	s_waitcnt vmcnt(4) lgkmcnt(1)
	v_mul_f64 v[24:25], v[28:29], v[10:11]
	v_fma_f64 v[24:25], v[26:27], v[8:9], v[24:25]
	v_mul_f64 v[8:9], v[28:29], v[8:9]
	v_fma_f64 v[26:27], v[26:27], v[10:11], -v[8:9]
	s_waitcnt vmcnt(0) lgkmcnt(0)
	v_mul_f64 v[8:9], v[32:33], v[14:15]
	v_fma_f64 v[28:29], v[30:31], v[12:13], v[8:9]
	v_mul_f64 v[8:9], v[32:33], v[12:13]
	v_fma_f64 v[30:31], v[30:31], v[14:15], -v[8:9]
	ds_read_b128 v[8:11], v216 offset:13312
	ds_read_b128 v[12:15], v216 offset:14144
	buffer_load_dword v34, off, s[52:55], 0 offset:660 ; 4-byte Folded Reload
	buffer_load_dword v35, off, s[52:55], 0 offset:664 ; 4-byte Folded Reload
	;; [unrolled: 1-line block ×8, first 2 shown]
	s_waitcnt vmcnt(4) lgkmcnt(1)
	v_mul_f64 v[32:33], v[36:37], v[10:11]
	v_fma_f64 v[32:33], v[34:35], v[8:9], v[32:33]
	v_mul_f64 v[8:9], v[36:37], v[8:9]
	v_fma_f64 v[34:35], v[34:35], v[10:11], -v[8:9]
	s_waitcnt vmcnt(0) lgkmcnt(0)
	v_mul_f64 v[8:9], v[40:41], v[14:15]
	v_fma_f64 v[36:37], v[38:39], v[12:13], v[8:9]
	v_mul_f64 v[8:9], v[40:41], v[12:13]
	v_fma_f64 v[38:39], v[38:39], v[14:15], -v[8:9]
	ds_read_b128 v[8:11], v216 offset:14976
	ds_read_b128 v[12:15], v216 offset:15808
	buffer_load_dword v60, off, s[52:55], 0 offset:692 ; 4-byte Folded Reload
	buffer_load_dword v61, off, s[52:55], 0 offset:696 ; 4-byte Folded Reload
	buffer_load_dword v62, off, s[52:55], 0 offset:700 ; 4-byte Folded Reload
	buffer_load_dword v63, off, s[52:55], 0 offset:704 ; 4-byte Folded Reload
	s_waitcnt vmcnt(0) lgkmcnt(1)
	v_mul_f64 v[40:41], v[62:63], v[10:11]
	v_fma_f64 v[40:41], v[60:61], v[8:9], v[40:41]
	v_mul_f64 v[8:9], v[62:63], v[8:9]
	v_fma_f64 v[42:43], v[60:61], v[10:11], -v[8:9]
	buffer_load_dword v60, off, s[52:55], 0 offset:708 ; 4-byte Folded Reload
	buffer_load_dword v61, off, s[52:55], 0 offset:712 ; 4-byte Folded Reload
	buffer_load_dword v62, off, s[52:55], 0 offset:716 ; 4-byte Folded Reload
	buffer_load_dword v63, off, s[52:55], 0 offset:720 ; 4-byte Folded Reload
	s_waitcnt vmcnt(0) lgkmcnt(0)
	v_mul_f64 v[8:9], v[62:63], v[14:15]
	v_fma_f64 v[112:113], v[60:61], v[12:13], v[8:9]
	v_mul_f64 v[8:9], v[62:63], v[12:13]
	v_fma_f64 v[114:115], v[60:61], v[14:15], -v[8:9]
	ds_read_b128 v[8:11], v216 offset:16640
	ds_read_b128 v[12:15], v216 offset:17472
	buffer_load_dword v62, off, s[52:55], 0 offset:724 ; 4-byte Folded Reload
	buffer_load_dword v63, off, s[52:55], 0 offset:728 ; 4-byte Folded Reload
	buffer_load_dword v64, off, s[52:55], 0 offset:732 ; 4-byte Folded Reload
	buffer_load_dword v65, off, s[52:55], 0 offset:736 ; 4-byte Folded Reload
	s_waitcnt vmcnt(0) lgkmcnt(1)
	v_mul_f64 v[60:61], v[64:65], v[10:11]
	v_fma_f64 v[116:117], v[62:63], v[8:9], v[60:61]
	v_mul_f64 v[8:9], v[64:65], v[8:9]
	v_fma_f64 v[118:119], v[62:63], v[10:11], -v[8:9]
	buffer_load_dword v60, off, s[52:55], 0 offset:740 ; 4-byte Folded Reload
	buffer_load_dword v61, off, s[52:55], 0 offset:744 ; 4-byte Folded Reload
	buffer_load_dword v62, off, s[52:55], 0 offset:748 ; 4-byte Folded Reload
	buffer_load_dword v63, off, s[52:55], 0 offset:752 ; 4-byte Folded Reload
	;; [unrolled: 20-line block ×3, first 2 shown]
	s_waitcnt vmcnt(0) lgkmcnt(0)
	v_mul_f64 v[8:9], v[62:63], v[14:15]
	v_fma_f64 v[128:129], v[60:61], v[12:13], v[8:9]
	v_mul_f64 v[8:9], v[62:63], v[12:13]
	v_fma_f64 v[130:131], v[60:61], v[14:15], -v[8:9]
	ds_read_b128 v[8:11], v216
	ds_read_b128 v[12:15], v216 offset:832
	ds_read_b128 v[68:71], v216 offset:1664
	;; [unrolled: 1-line block ×11, first 2 shown]
	s_waitcnt lgkmcnt(0)
	v_add_f64 v[60:61], v[8:9], -v[16:17]
	v_add_f64 v[62:63], v[10:11], -v[18:19]
	;; [unrolled: 1-line block ×4, first 2 shown]
	; wave barrier
	v_add_f64 v[76:77], v[68:69], -v[24:25]
	v_add_f64 v[78:79], v[70:71], -v[26:27]
	v_fma_f64 v[8:9], v[8:9], 2.0, -v[60:61]
	v_fma_f64 v[10:11], v[10:11], 2.0, -v[62:63]
	;; [unrolled: 1-line block ×4, first 2 shown]
	ds_write_b128 v216, v[8:11]
	ds_write_b128 v216, v[60:63] offset:832
	ds_write_b128 v216, v[12:15] offset:1664
	ds_write_b128 v216, v[64:67] offset:2496
	buffer_load_dword v8, off, s[52:55], 0 offset:568 ; 4-byte Folded Reload
	v_fma_f64 v[68:69], v[68:69], 2.0, -v[76:77]
	v_fma_f64 v[70:71], v[70:71], 2.0, -v[78:79]
	v_add_f64 v[10:11], v[74:75], -v[30:31]
	v_add_f64 v[60:61], v[104:105], -v[124:125]
	;; [unrolled: 1-line block ×3, first 2 shown]
	s_waitcnt vmcnt(0)
	ds_write_b128 v8, v[68:71] offset:3328
	ds_write_b128 v8, v[76:79] offset:4160
	buffer_load_dword v16, off, s[52:55], 0 offset:572 ; 4-byte Folded Reload
	v_add_f64 v[8:9], v[72:73], -v[28:29]
	v_fma_f64 v[14:15], v[74:75], 2.0, -v[10:11]
	v_fma_f64 v[64:65], v[104:105], 2.0, -v[60:61]
	;; [unrolled: 1-line block ×3, first 2 shown]
	v_add_f64 v[68:69], v[108:109], -v[128:129]
	v_add_f64 v[70:71], v[110:111], -v[130:131]
	v_fma_f64 v[12:13], v[72:73], 2.0, -v[8:9]
	s_waitcnt vmcnt(0)
	ds_write_b128 v16, v[12:15] offset:4992
	ds_write_b128 v16, v[8:11] offset:5824
	buffer_load_dword v16, off, s[52:55], 0 offset:576 ; 4-byte Folded Reload
	v_add_f64 v[8:9], v[80:81], -v[32:33]
	v_add_f64 v[10:11], v[82:83], -v[34:35]
	v_fma_f64 v[72:73], v[108:109], 2.0, -v[68:69]
	v_fma_f64 v[74:75], v[110:111], 2.0, -v[70:71]
	;; [unrolled: 1-line block ×4, first 2 shown]
	s_waitcnt vmcnt(0)
	ds_write_b128 v16, v[12:15] offset:6656
	ds_write_b128 v16, v[8:11] offset:7488
	buffer_load_dword v16, off, s[52:55], 0 offset:580 ; 4-byte Folded Reload
	v_add_f64 v[8:9], v[84:85], -v[36:37]
	v_add_f64 v[10:11], v[86:87], -v[38:39]
	v_fma_f64 v[12:13], v[84:85], 2.0, -v[8:9]
	v_fma_f64 v[14:15], v[86:87], 2.0, -v[10:11]
	s_waitcnt vmcnt(0)
	ds_write_b128 v16, v[12:15] offset:8320
	ds_write_b128 v16, v[8:11] offset:9152
	buffer_load_dword v16, off, s[52:55], 0 offset:584 ; 4-byte Folded Reload
	v_add_f64 v[8:9], v[88:89], -v[40:41]
	v_add_f64 v[10:11], v[90:91], -v[42:43]
	v_fma_f64 v[12:13], v[88:89], 2.0, -v[8:9]
	v_fma_f64 v[14:15], v[90:91], 2.0, -v[10:11]
	;; [unrolled: 8-line block ×5, first 2 shown]
	s_waitcnt vmcnt(0)
	ds_write_b128 v16, v[12:15] offset:14976
	ds_write_b128 v16, v[8:11] offset:15808
	buffer_load_dword v8, off, s[52:55], 0 offset:612 ; 4-byte Folded Reload
	s_waitcnt vmcnt(0)
	ds_write_b128 v8, v[64:67] offset:16640
	ds_write_b128 v8, v[60:63] offset:17472
	buffer_load_dword v8, off, s[52:55], 0 offset:620 ; 4-byte Folded Reload
	s_waitcnt vmcnt(0)
	ds_write_b128 v8, v[72:75] offset:18304
	ds_write_b128 v8, v[68:71] offset:19136
	s_waitcnt lgkmcnt(0)
	; wave barrier
	s_waitcnt lgkmcnt(0)
	ds_read_b128 v[8:11], v216 offset:6656
	ds_read_b128 v[12:15], v216 offset:7488
	;; [unrolled: 1-line block ×4, first 2 shown]
	s_waitcnt lgkmcnt(3)
	v_mul_f64 v[16:17], v[198:199], v[10:11]
	v_mul_f64 v[18:19], v[198:199], v[8:9]
	s_waitcnt lgkmcnt(1)
	v_mul_f64 v[20:21], v[198:199], v[62:63]
	v_mul_f64 v[22:23], v[198:199], v[60:61]
	v_fma_f64 v[16:17], v[196:197], v[8:9], v[16:17]
	v_fma_f64 v[18:19], v[196:197], v[10:11], -v[18:19]
	ds_read_b128 v[8:11], v216 offset:13312
	v_fma_f64 v[20:21], v[196:197], v[60:61], v[20:21]
	v_fma_f64 v[22:23], v[196:197], v[62:63], -v[22:23]
	ds_read_b128 v[60:63], v216 offset:14144
	s_waitcnt lgkmcnt(1)
	v_mul_f64 v[24:25], v[194:195], v[10:11]
	v_mul_f64 v[26:27], v[194:195], v[8:9]
	v_fma_f64 v[24:25], v[192:193], v[8:9], v[24:25]
	v_fma_f64 v[26:27], v[192:193], v[10:11], -v[26:27]
	ds_read_b128 v[8:11], v216 offset:14976
	ds_read_b128 v[68:71], v216 offset:15808
	s_waitcnt lgkmcnt(1)
	v_mul_f64 v[28:29], v[194:195], v[10:11]
	v_fma_f64 v[28:29], v[192:193], v[8:9], v[28:29]
	v_mul_f64 v[8:9], v[194:195], v[8:9]
	v_fma_f64 v[30:31], v[192:193], v[10:11], -v[8:9]
	v_mul_f64 v[8:9], v[202:203], v[14:15]
	v_mul_f64 v[10:11], v[190:191], v[60:61]
	v_fma_f64 v[32:33], v[200:201], v[12:13], v[8:9]
	v_mul_f64 v[8:9], v[202:203], v[12:13]
	v_fma_f64 v[42:43], v[188:189], v[62:63], -v[10:11]
	s_waitcnt lgkmcnt(0)
	v_mul_f64 v[10:11], v[190:191], v[68:69]
	v_fma_f64 v[34:35], v[200:201], v[14:15], -v[8:9]
	v_mul_f64 v[8:9], v[202:203], v[66:67]
	v_fma_f64 v[94:95], v[188:189], v[70:71], -v[10:11]
	v_fma_f64 v[36:37], v[200:201], v[64:65], v[8:9]
	v_mul_f64 v[8:9], v[202:203], v[64:65]
	v_fma_f64 v[38:39], v[200:201], v[66:67], -v[8:9]
	v_mul_f64 v[8:9], v[190:191], v[62:63]
	v_fma_f64 v[40:41], v[188:189], v[60:61], v[8:9]
	v_mul_f64 v[8:9], v[190:191], v[70:71]
	v_fma_f64 v[92:93], v[188:189], v[68:69], v[8:9]
	ds_read_b128 v[8:11], v216 offset:9984
	ds_read_b128 v[12:15], v216 offset:10816
	buffer_load_dword v62, off, s[52:55], 0 offset:804 ; 4-byte Folded Reload
	buffer_load_dword v63, off, s[52:55], 0 offset:808 ; 4-byte Folded Reload
	;; [unrolled: 1-line block ×4, first 2 shown]
	s_waitcnt vmcnt(0) lgkmcnt(1)
	v_mul_f64 v[60:61], v[64:65], v[10:11]
	v_fma_f64 v[108:109], v[62:63], v[8:9], v[60:61]
	v_mul_f64 v[8:9], v[64:65], v[8:9]
	v_fma_f64 v[110:111], v[62:63], v[10:11], -v[8:9]
	ds_read_b128 v[8:11], v216 offset:16640
	ds_read_b128 v[60:63], v216 offset:17472
	buffer_load_dword v66, off, s[52:55], 0 offset:788 ; 4-byte Folded Reload
	buffer_load_dword v67, off, s[52:55], 0 offset:792 ; 4-byte Folded Reload
	;; [unrolled: 1-line block ×4, first 2 shown]
	s_waitcnt vmcnt(0) lgkmcnt(1)
	v_mul_f64 v[64:65], v[68:69], v[10:11]
	v_fma_f64 v[112:113], v[66:67], v[8:9], v[64:65]
	v_mul_f64 v[8:9], v[68:69], v[8:9]
	v_fma_f64 v[114:115], v[66:67], v[10:11], -v[8:9]
	buffer_load_dword v64, off, s[52:55], 0 offset:836 ; 4-byte Folded Reload
	buffer_load_dword v65, off, s[52:55], 0 offset:840 ; 4-byte Folded Reload
	;; [unrolled: 1-line block ×4, first 2 shown]
	s_waitcnt vmcnt(0)
	v_mul_f64 v[8:9], v[66:67], v[14:15]
	v_fma_f64 v[116:117], v[64:65], v[12:13], v[8:9]
	v_mul_f64 v[8:9], v[66:67], v[12:13]
	v_fma_f64 v[118:119], v[64:65], v[14:15], -v[8:9]
	buffer_load_dword v12, off, s[52:55], 0 offset:820 ; 4-byte Folded Reload
	buffer_load_dword v13, off, s[52:55], 0 offset:824 ; 4-byte Folded Reload
	;; [unrolled: 1-line block ×4, first 2 shown]
	s_waitcnt vmcnt(0) lgkmcnt(0)
	v_mul_f64 v[8:9], v[14:15], v[62:63]
	v_mul_f64 v[10:11], v[14:15], v[60:61]
	v_fma_f64 v[120:121], v[12:13], v[60:61], v[8:9]
	v_fma_f64 v[122:123], v[12:13], v[62:63], -v[10:11]
	ds_read_b128 v[8:11], v216 offset:11648
	ds_read_b128 v[12:15], v216 offset:12480
	buffer_load_dword v62, off, s[52:55], 0 offset:868 ; 4-byte Folded Reload
	buffer_load_dword v63, off, s[52:55], 0 offset:872 ; 4-byte Folded Reload
	buffer_load_dword v64, off, s[52:55], 0 offset:876 ; 4-byte Folded Reload
	buffer_load_dword v65, off, s[52:55], 0 offset:880 ; 4-byte Folded Reload
	s_waitcnt vmcnt(0) lgkmcnt(1)
	v_mul_f64 v[60:61], v[64:65], v[10:11]
	v_fma_f64 v[132:133], v[62:63], v[8:9], v[60:61]
	v_mul_f64 v[8:9], v[64:65], v[8:9]
	v_fma_f64 v[134:135], v[62:63], v[10:11], -v[8:9]
	ds_read_b128 v[8:11], v216 offset:18304
	ds_read_b128 v[60:63], v216 offset:19136
	buffer_load_dword v66, off, s[52:55], 0 offset:852 ; 4-byte Folded Reload
	buffer_load_dword v67, off, s[52:55], 0 offset:856 ; 4-byte Folded Reload
	;; [unrolled: 1-line block ×4, first 2 shown]
	s_waitcnt vmcnt(0) lgkmcnt(1)
	v_mul_f64 v[64:65], v[68:69], v[10:11]
	v_fma_f64 v[136:137], v[66:67], v[8:9], v[64:65]
	v_mul_f64 v[8:9], v[68:69], v[8:9]
	v_fma_f64 v[138:139], v[66:67], v[10:11], -v[8:9]
	buffer_load_dword v64, off, s[52:55], 0 offset:900 ; 4-byte Folded Reload
	buffer_load_dword v65, off, s[52:55], 0 offset:904 ; 4-byte Folded Reload
	;; [unrolled: 1-line block ×4, first 2 shown]
	s_waitcnt vmcnt(0)
	v_mul_f64 v[8:9], v[66:67], v[14:15]
	v_fma_f64 v[140:141], v[64:65], v[12:13], v[8:9]
	v_mul_f64 v[8:9], v[66:67], v[12:13]
	v_fma_f64 v[142:143], v[64:65], v[14:15], -v[8:9]
	buffer_load_dword v12, off, s[52:55], 0 offset:884 ; 4-byte Folded Reload
	buffer_load_dword v13, off, s[52:55], 0 offset:888 ; 4-byte Folded Reload
	;; [unrolled: 1-line block ×4, first 2 shown]
	v_add_f64 v[64:65], v[16:17], v[24:25]
	s_waitcnt vmcnt(0) lgkmcnt(0)
	v_mul_f64 v[8:9], v[14:15], v[62:63]
	v_mul_f64 v[10:11], v[14:15], v[60:61]
	v_fma_f64 v[144:145], v[12:13], v[60:61], v[8:9]
	v_add_f64 v[60:61], v[18:19], v[26:27]
	v_fma_f64 v[146:147], v[12:13], v[62:63], -v[10:11]
	ds_read_b128 v[8:11], v216
	ds_read_b128 v[12:15], v216 offset:832
	ds_read_b128 v[76:79], v216 offset:1664
	;; [unrolled: 1-line block ×7, first 2 shown]
	s_waitcnt lgkmcnt(7)
	v_fma_f64 v[62:63], v[64:65], -0.5, v[8:9]
	v_add_f64 v[8:9], v[8:9], v[16:17]
	v_fma_f64 v[66:67], v[60:61], -0.5, v[10:11]
	v_add_f64 v[10:11], v[10:11], v[18:19]
	v_add_f64 v[18:19], v[18:19], -v[26:27]
	v_add_f64 v[16:17], v[16:17], -v[24:25]
	s_waitcnt lgkmcnt(0)
	; wave barrier
	s_waitcnt lgkmcnt(0)
	v_add_f64 v[8:9], v[8:9], v[24:25]
	v_add_f64 v[24:25], v[34:35], -v[42:43]
	v_add_f64 v[10:11], v[10:11], v[26:27]
	v_fma_f64 v[60:61], v[18:19], s[0:1], v[62:63]
	v_fma_f64 v[64:65], v[18:19], s[2:3], v[62:63]
	;; [unrolled: 1-line block ×4, first 2 shown]
	v_add_f64 v[16:17], v[32:33], v[40:41]
	v_add_f64 v[18:19], v[34:35], v[42:43]
	v_add_f64 v[26:27], v[32:33], -v[40:41]
	v_fma_f64 v[16:17], v[16:17], -0.5, v[12:13]
	v_fma_f64 v[18:19], v[18:19], -0.5, v[14:15]
	v_add_f64 v[14:15], v[14:15], v[34:35]
	v_add_f64 v[12:13], v[12:13], v[32:33]
	v_fma_f64 v[68:69], v[24:25], s[0:1], v[16:17]
	v_fma_f64 v[72:73], v[24:25], s[2:3], v[16:17]
	;; [unrolled: 1-line block ×4, first 2 shown]
	v_add_f64 v[16:17], v[20:21], v[28:29]
	v_add_f64 v[18:19], v[22:23], v[30:31]
	;; [unrolled: 1-line block ×4, first 2 shown]
	v_add_f64 v[22:23], v[22:23], -v[30:31]
	v_add_f64 v[20:21], v[20:21], -v[28:29]
	v_add_f64 v[14:15], v[14:15], v[42:43]
	v_add_f64 v[12:13], v[12:13], v[40:41]
	v_fma_f64 v[16:17], v[16:17], -0.5, v[76:77]
	v_fma_f64 v[18:19], v[18:19], -0.5, v[78:79]
	v_add_f64 v[78:79], v[24:25], v[30:31]
	v_add_f64 v[24:25], v[38:39], -v[94:95]
	v_add_f64 v[76:77], v[26:27], v[28:29]
	ds_write_b128 v216, v[8:11]
	ds_write_b128 v216, v[60:63] offset:1664
	ds_write_b128 v216, v[64:67] offset:3328
	;; [unrolled: 1-line block ×5, first 2 shown]
	buffer_load_dword v148, off, s[52:55], 0 offset:168 ; 4-byte Folded Reload
	buffer_load_dword v149, off, s[52:55], 0 offset:172 ; 4-byte Folded Reload
	v_fma_f64 v[84:85], v[22:23], s[0:1], v[16:17]
	v_fma_f64 v[88:89], v[22:23], s[2:3], v[16:17]
	;; [unrolled: 1-line block ×4, first 2 shown]
	v_add_f64 v[16:17], v[36:37], v[92:93]
	v_add_f64 v[18:19], v[38:39], v[94:95]
	;; [unrolled: 1-line block ×4, first 2 shown]
	v_fma_f64 v[16:17], v[16:17], -0.5, v[80:81]
	v_fma_f64 v[18:19], v[18:19], -0.5, v[82:83]
	v_add_f64 v[82:83], v[20:21], v[94:95]
	v_add_f64 v[20:21], v[36:37], -v[92:93]
	v_add_f64 v[80:81], v[22:23], v[92:93]
	v_add_f64 v[22:23], v[100:101], v[108:109]
	v_fma_f64 v[92:93], v[24:25], s[0:1], v[16:17]
	v_fma_f64 v[96:97], v[24:25], s[2:3], v[16:17]
	v_add_f64 v[16:17], v[108:109], v[112:113]
	v_fma_f64 v[94:95], v[20:21], s[2:3], v[18:19]
	v_fma_f64 v[98:99], v[20:21], s[0:1], v[18:19]
	ds_write_b128 v216, v[76:79] offset:4992
	ds_write_b128 v216, v[84:87] offset:6656
	ds_write_b128 v216, v[88:91] offset:8320
	ds_write_b128 v216, v[80:83] offset:5824
	ds_write_b128 v216, v[92:95] offset:7488
	ds_write_b128 v216, v[96:99] offset:9152
	buffer_load_dword v10, off, s[52:55], 0 offset:916 ; 4-byte Folded Reload
	v_add_f64 v[18:19], v[110:111], v[114:115]
	v_add_f64 v[20:21], v[102:103], v[110:111]
	v_fma_f64 v[16:17], v[16:17], -0.5, v[100:101]
	v_add_f64 v[24:25], v[110:111], -v[114:115]
	v_add_f64 v[100:101], v[22:23], v[112:113]
	v_add_f64 v[22:23], v[104:105], v[116:117]
	v_fma_f64 v[18:19], v[18:19], -0.5, v[102:103]
	v_add_f64 v[102:103], v[20:21], v[114:115]
	v_add_f64 v[20:21], v[108:109], -v[112:113]
	v_fma_f64 v[108:109], v[24:25], s[0:1], v[16:17]
	v_fma_f64 v[112:113], v[24:25], s[2:3], v[16:17]
	v_add_f64 v[16:17], v[116:117], v[120:121]
	v_add_f64 v[24:25], v[118:119], -v[122:123]
	v_fma_f64 v[110:111], v[20:21], s[2:3], v[18:19]
	v_fma_f64 v[114:115], v[20:21], s[0:1], v[18:19]
	s_waitcnt vmcnt(0)
	ds_write_b128 v10, v[100:103] offset:9984
	ds_write_b128 v10, v[108:111] offset:11648
	ds_write_b128 v10, v[112:115] offset:13312
	buffer_load_dword v10, off, s[52:55], 0 offset:920 ; 4-byte Folded Reload
	v_add_f64 v[18:19], v[118:119], v[122:123]
	v_add_f64 v[20:21], v[106:107], v[118:119]
	v_fma_f64 v[16:17], v[16:17], -0.5, v[104:105]
	v_add_f64 v[104:105], v[22:23], v[120:121]
	v_add_f64 v[22:23], v[124:125], v[132:133]
	v_fma_f64 v[18:19], v[18:19], -0.5, v[106:107]
	v_add_f64 v[106:107], v[20:21], v[122:123]
	v_add_f64 v[20:21], v[116:117], -v[120:121]
	v_fma_f64 v[116:117], v[24:25], s[0:1], v[16:17]
	v_fma_f64 v[120:121], v[24:25], s[2:3], v[16:17]
	v_add_f64 v[16:17], v[132:133], v[136:137]
	v_add_f64 v[24:25], v[134:135], -v[138:139]
	v_fma_f64 v[118:119], v[20:21], s[2:3], v[18:19]
	v_fma_f64 v[122:123], v[20:21], s[0:1], v[18:19]
	s_waitcnt vmcnt(0)
	ds_write_b128 v10, v[104:107] offset:9984
	ds_write_b128 v10, v[116:119] offset:11648
	ds_write_b128 v10, v[120:123] offset:13312
	buffer_load_dword v10, off, s[52:55], 0 offset:924 ; 4-byte Folded Reload
	v_add_f64 v[18:19], v[134:135], v[138:139]
	v_add_f64 v[20:21], v[126:127], v[134:135]
	v_fma_f64 v[16:17], v[16:17], -0.5, v[124:125]
	;; [unrolled: 19-line block ×3, first 2 shown]
	v_add_f64 v[128:129], v[22:23], v[144:145]
	v_fma_f64 v[18:19], v[18:19], -0.5, v[130:131]
	v_add_f64 v[130:131], v[20:21], v[146:147]
	v_add_f64 v[20:21], v[140:141], -v[144:145]
	v_fma_f64 v[140:141], v[24:25], s[0:1], v[16:17]
	v_fma_f64 v[144:145], v[24:25], s[2:3], v[16:17]
	v_fma_f64 v[142:143], v[20:21], s[2:3], v[18:19]
	v_fma_f64 v[146:147], v[20:21], s[0:1], v[18:19]
	s_waitcnt vmcnt(0)
	ds_write_b128 v10, v[128:131] offset:14976
	ds_write_b128 v10, v[140:143] offset:16640
	;; [unrolled: 1-line block ×3, first 2 shown]
	s_waitcnt lgkmcnt(0)
	; wave barrier
	s_waitcnt lgkmcnt(0)
	ds_read_b128 v[10:13], v216
	ds_read_b128 v[60:63], v216 offset:832
	ds_read_b128 v[64:67], v216 offset:9984
	ds_read_b128 v[68:71], v216 offset:10816
	ds_read_b128 v[72:75], v216 offset:1664
	ds_read_b128 v[76:79], v216 offset:2496
	ds_read_b128 v[80:83], v216 offset:11648
	ds_read_b128 v[84:87], v216 offset:12480
	ds_read_b128 v[88:91], v216 offset:3328
	ds_read_b128 v[92:95], v216 offset:4160
	ds_read_b128 v[96:99], v216 offset:13312
	ds_read_b128 v[100:103], v216 offset:14144
	s_waitcnt lgkmcnt(9)
	v_mul_f64 v[14:15], v[242:243], v[66:67]
	v_mul_f64 v[16:17], v[242:243], v[64:65]
	ds_read_b128 v[104:107], v216 offset:14976
	s_waitcnt lgkmcnt(9)
	v_mul_f64 v[18:19], v[246:247], v[70:71]
	v_mul_f64 v[20:21], v[246:247], v[68:69]
	ds_read_b128 v[108:111], v216 offset:4992
	ds_read_b128 v[112:115], v216 offset:5824
	;; [unrolled: 1-line block ×3, first 2 shown]
	s_waitcnt lgkmcnt(8)
	v_mul_f64 v[34:35], v[254:255], v[86:87]
	s_waitcnt lgkmcnt(3)
	v_mul_f64 v[22:23], v[242:243], v[106:107]
	v_fma_f64 v[14:15], v[240:241], v[64:65], v[14:15]
	v_fma_f64 v[16:17], v[240:241], v[66:67], -v[16:17]
	ds_read_b128 v[64:67], v216 offset:16640
	v_mul_f64 v[24:25], v[242:243], v[104:105]
	v_fma_f64 v[18:19], v[244:245], v[68:69], v[18:19]
	v_fma_f64 v[20:21], v[244:245], v[70:71], -v[20:21]
	ds_read_b128 v[68:71], v216 offset:17472
	v_mul_f64 v[30:31], v[250:251], v[82:83]
	v_mul_f64 v[32:33], v[250:251], v[80:81]
	s_waitcnt lgkmcnt(1)
	v_mul_f64 v[36:37], v[250:251], v[66:67]
	v_mul_f64 v[38:39], v[250:251], v[64:65]
	;; [unrolled: 1-line block ×3, first 2 shown]
	v_fma_f64 v[22:23], v[240:241], v[104:105], v[22:23]
	v_fma_f64 v[24:25], v[240:241], v[106:107], -v[24:25]
	v_fma_f64 v[34:35], v[252:253], v[84:85], v[34:35]
	v_mul_f64 v[40:41], v[254:255], v[84:85]
	v_mul_f64 v[84:85], v[2:3], v[96:97]
	s_waitcnt lgkmcnt(0)
	v_mul_f64 v[104:105], v[254:255], v[70:71]
	v_mul_f64 v[106:107], v[254:255], v[68:69]
	v_fma_f64 v[30:31], v[248:249], v[80:81], v[30:31]
	v_fma_f64 v[32:33], v[248:249], v[82:83], -v[32:33]
	v_fma_f64 v[36:37], v[248:249], v[64:65], v[36:37]
	v_fma_f64 v[38:39], v[248:249], v[66:67], -v[38:39]
	ds_read_b128 v[64:67], v216 offset:18304
	ds_read_b128 v[80:83], v216 offset:19136
	v_mul_f64 v[28:29], v[246:247], v[116:117]
	v_fma_f64 v[26:27], v[244:245], v[116:117], v[26:27]
	v_mul_f64 v[42:43], v[2:3], v[98:99]
	v_fma_f64 v[40:41], v[252:253], v[86:87], -v[40:41]
	v_fma_f64 v[116:117], v[0:1], v[98:99], -v[84:85]
	s_waitcnt lgkmcnt(1)
	v_mul_f64 v[84:85], v[2:3], v[66:67]
	v_mul_f64 v[2:3], v[2:3], v[64:65]
	v_fma_f64 v[132:133], v[252:253], v[68:69], v[104:105]
	v_fma_f64 v[134:135], v[252:253], v[70:71], -v[106:107]
	v_mul_f64 v[68:69], v[6:7], v[102:103]
	v_mul_f64 v[70:71], v[6:7], v[100:101]
	s_waitcnt lgkmcnt(0)
	v_mul_f64 v[86:87], v[6:7], v[82:83]
	v_mul_f64 v[6:7], v[6:7], v[80:81]
	v_fma_f64 v[28:29], v[244:245], v[118:119], -v[28:29]
	v_fma_f64 v[42:43], v[0:1], v[96:97], v[42:43]
	v_fma_f64 v[136:137], v[0:1], v[64:65], v[84:85]
	v_fma_f64 v[138:139], v[0:1], v[66:67], -v[2:3]
	v_fma_f64 v[118:119], v[4:5], v[100:101], v[68:69]
	v_fma_f64 v[120:121], v[4:5], v[102:103], -v[70:71]
	;; [unrolled: 2-line block ×3, first 2 shown]
	v_add_f64 v[80:81], v[10:11], -v[14:15]
	v_add_f64 v[82:83], v[12:13], -v[16:17]
	ds_read_b128 v[0:3], v216 offset:6656
	ds_read_b128 v[64:67], v216 offset:7488
	;; [unrolled: 1-line block ×4, first 2 shown]
	v_add_f64 v[84:85], v[60:61], -v[18:19]
	v_add_f64 v[86:87], v[62:63], -v[20:21]
	;; [unrolled: 1-line block ×14, first 2 shown]
	s_waitcnt lgkmcnt(3)
	v_add_f64 v[128:129], v[0:1], -v[36:37]
	v_add_f64 v[130:131], v[2:3], -v[38:39]
	s_waitcnt lgkmcnt(2)
	v_add_f64 v[132:133], v[64:65], -v[132:133]
	v_add_f64 v[134:135], v[66:67], -v[134:135]
	;; [unrolled: 3-line block ×4, first 2 shown]
	v_fma_f64 v[10:11], v[10:11], 2.0, -v[80:81]
	v_fma_f64 v[12:13], v[12:13], 2.0, -v[82:83]
	;; [unrolled: 1-line block ×24, first 2 shown]
	s_waitcnt lgkmcnt(0)
	; wave barrier
	ds_write_b128 v216, v[10:13]
	ds_write_b128 v216, v[80:83] offset:4992
	ds_write_b128 v216, v[60:63] offset:832
	;; [unrolled: 1-line block ×23, first 2 shown]
	s_waitcnt lgkmcnt(0)
	; wave barrier
	s_waitcnt lgkmcnt(0)
	ds_read_b128 v[0:3], v216
	ds_read_b128 v[4:7], v216 offset:832
	ds_read_b128 v[10:13], v216 offset:9984
	;; [unrolled: 1-line block ×17, first 2 shown]
	buffer_load_dword v24, off, s[52:55], 0 offset:932 ; 4-byte Folded Reload
	buffer_load_dword v25, off, s[52:55], 0 offset:936 ; 4-byte Folded Reload
	;; [unrolled: 1-line block ×4, first 2 shown]
	ds_read_b128 v[120:123], v216 offset:16640
	ds_read_b128 v[124:127], v216 offset:17472
	;; [unrolled: 1-line block ×4, first 2 shown]
	buffer_load_dword v34, off, s[52:55], 0 offset:948 ; 4-byte Folded Reload
	buffer_load_dword v35, off, s[52:55], 0 offset:952 ; 4-byte Folded Reload
	;; [unrolled: 1-line block ×4, first 2 shown]
	v_mad_u64_u32 v[8:9], s[0:1], s10, v148, 0
	s_waitcnt vmcnt(4) lgkmcnt(14)
	v_mul_f64 v[14:15], v[26:27], v[12:13]
	v_mul_f64 v[16:17], v[26:27], v[10:11]
	s_waitcnt vmcnt(0)
	v_mul_f64 v[18:19], v[36:37], v[62:63]
	v_mul_f64 v[20:21], v[36:37], v[60:61]
	buffer_load_dword v36, off, s[52:55], 0 offset:964 ; 4-byte Folded Reload
	buffer_load_dword v37, off, s[52:55], 0 offset:968 ; 4-byte Folded Reload
	;; [unrolled: 1-line block ×4, first 2 shown]
	v_fma_f64 v[22:23], v[24:25], v[10:11], v[14:15]
	v_fma_f64 v[24:25], v[24:25], v[12:13], -v[16:17]
	v_fma_f64 v[18:19], v[34:35], v[60:61], v[18:19]
	v_fma_f64 v[20:21], v[34:35], v[62:63], -v[20:21]
	s_waitcnt vmcnt(0)
	v_mul_f64 v[26:27], v[38:39], v[74:75]
	v_mul_f64 v[28:29], v[38:39], v[72:73]
	buffer_load_dword v38, off, s[52:55], 0 offset:980 ; 4-byte Folded Reload
	buffer_load_dword v39, off, s[52:55], 0 offset:984 ; 4-byte Folded Reload
	;; [unrolled: 1-line block ×4, first 2 shown]
	ds_read_b128 v[10:13], v216 offset:18304
	ds_read_b128 v[14:17], v216 offset:19136
	v_fma_f64 v[26:27], v[36:37], v[72:73], v[26:27]
	v_fma_f64 v[28:29], v[36:37], v[74:75], -v[28:29]
	s_waitcnt vmcnt(0)
	v_mul_f64 v[30:31], v[40:41], v[78:79]
	v_mul_f64 v[32:33], v[40:41], v[76:77]
	v_fma_f64 v[30:31], v[38:39], v[76:77], v[30:31]
	buffer_load_dword v74, off, s[52:55], 0 offset:996 ; 4-byte Folded Reload
	buffer_load_dword v75, off, s[52:55], 0 offset:1000 ; 4-byte Folded Reload
	;; [unrolled: 1-line block ×4, first 2 shown]
	v_fma_f64 v[32:33], v[38:39], v[78:79], -v[32:33]
	s_waitcnt vmcnt(0) lgkmcnt(13)
	v_mul_f64 v[34:35], v[76:77], v[90:91]
	v_mul_f64 v[36:37], v[76:77], v[88:89]
	buffer_load_dword v76, off, s[52:55], 0 offset:1012 ; 4-byte Folded Reload
	buffer_load_dword v77, off, s[52:55], 0 offset:1016 ; 4-byte Folded Reload
	;; [unrolled: 1-line block ×8, first 2 shown]
	v_fma_f64 v[34:35], v[74:75], v[88:89], v[34:35]
	v_fma_f64 v[36:37], v[74:75], v[90:91], -v[36:37]
	s_waitcnt lgkmcnt(5)
	v_mul_f64 v[74:75], v[46:47], v[122:123]
	v_mul_f64 v[46:47], v[46:47], v[120:121]
	s_waitcnt lgkmcnt(0)
	v_mul_f64 v[88:89], v[58:59], v[16:17]
	v_mul_f64 v[58:59], v[58:59], v[14:15]
	v_add_f64 v[34:35], v[80:81], -v[34:35]
	v_add_f64 v[36:37], v[82:83], -v[36:37]
	v_fma_f64 v[74:75], v[44:45], v[120:121], v[74:75]
	v_fma_f64 v[90:91], v[44:45], v[122:123], -v[46:47]
	v_fma_f64 v[88:89], v[56:57], v[14:15], v[88:89]
	v_add_f64 v[14:15], v[4:5], -v[18:19]
	v_add_f64 v[18:19], v[64:65], -v[26:27]
	v_fma_f64 v[4:5], v[4:5], 2.0, -v[14:15]
	v_fma_f64 v[26:27], v[64:65], 2.0, -v[18:19]
	s_waitcnt vmcnt(4)
	v_mul_f64 v[38:39], v[78:79], v[94:95]
	s_waitcnt vmcnt(0)
	v_mul_f64 v[42:43], v[138:139], v[106:107]
	v_mul_f64 v[60:61], v[138:139], v[104:105]
	buffer_load_dword v138, off, s[52:55], 0 offset:1044 ; 4-byte Folded Reload
	buffer_load_dword v139, off, s[52:55], 0 offset:1048 ; 4-byte Folded Reload
	;; [unrolled: 1-line block ×4, first 2 shown]
	v_mul_f64 v[40:41], v[78:79], v[92:93]
	v_mul_f64 v[78:79], v[54:55], v[12:13]
	;; [unrolled: 1-line block ×3, first 2 shown]
	v_fma_f64 v[38:39], v[76:77], v[92:93], v[38:39]
	v_fma_f64 v[42:43], v[136:137], v[104:105], v[42:43]
	v_fma_f64 v[60:61], v[136:137], v[106:107], -v[60:61]
	v_fma_f64 v[104:105], v[56:57], v[16:17], -v[58:59]
	;; [unrolled: 1-line block ×3, first 2 shown]
	v_mul_f64 v[76:77], v[50:51], v[126:127]
	v_mul_f64 v[50:51], v[50:51], v[124:125]
	v_fma_f64 v[78:79], v[52:53], v[10:11], v[78:79]
	v_fma_f64 v[94:95], v[52:53], v[12:13], -v[54:55]
	v_add_f64 v[10:11], v[0:1], -v[22:23]
	v_add_f64 v[12:13], v[2:3], -v[24:25]
	;; [unrolled: 1-line block ×4, first 2 shown]
	v_fma_f64 v[76:77], v[48:49], v[124:125], v[76:77]
	v_fma_f64 v[92:93], v[48:49], v[126:127], -v[50:51]
	v_add_f64 v[22:23], v[68:69], -v[30:31]
	v_add_f64 v[24:25], v[70:71], -v[32:33]
	v_fma_f64 v[0:1], v[0:1], 2.0, -v[10:11]
	v_fma_f64 v[2:3], v[2:3], 2.0, -v[12:13]
	v_add_f64 v[38:39], v[84:85], -v[38:39]
	v_fma_f64 v[28:29], v[66:67], 2.0, -v[20:21]
	v_add_f64 v[40:41], v[86:87], -v[40:41]
	v_add_f64 v[42:43], v[96:97], -v[42:43]
	v_fma_f64 v[30:31], v[68:69], 2.0, -v[22:23]
	v_fma_f64 v[32:33], v[70:71], 2.0, -v[24:25]
	v_add_f64 v[44:45], v[98:99], -v[60:61]
	v_fma_f64 v[50:51], v[80:81], 2.0, -v[34:35]
	v_add_f64 v[66:67], v[112:113], -v[74:75]
	v_add_f64 v[68:69], v[114:115], -v[90:91]
	;; [unrolled: 1-line block ×7, first 2 shown]
	v_fma_f64 v[6:7], v[6:7], 2.0, -v[16:17]
	v_fma_f64 v[52:53], v[82:83], 2.0, -v[36:37]
	;; [unrolled: 1-line block ×12, first 2 shown]
	s_waitcnt vmcnt(0)
	v_mul_f64 v[62:63], v[140:141], v[110:111]
	v_mul_f64 v[72:73], v[140:141], v[108:109]
	v_fma_f64 v[62:63], v[138:139], v[108:109], v[62:63]
	v_fma_f64 v[72:73], v[138:139], v[110:111], -v[72:73]
	v_add_f64 v[46:47], v[100:101], -v[62:63]
	v_add_f64 v[48:49], v[102:103], -v[72:73]
	;; [unrolled: 1-line block ×3, first 2 shown]
	v_fma_f64 v[92:93], v[130:131], 2.0, -v[76:77]
	v_fma_f64 v[62:63], v[100:101], 2.0, -v[46:47]
	;; [unrolled: 1-line block ×4, first 2 shown]
	ds_write_b128 v216, v[0:3]
	ds_write_b128 v216, v[10:13] offset:9984
	ds_write_b128 v216, v[4:7] offset:832
	;; [unrolled: 1-line block ×23, first 2 shown]
	s_waitcnt lgkmcnt(0)
	; wave barrier
	s_waitcnt lgkmcnt(0)
	ds_read_b128 v[0:3], v216
	ds_read_b128 v[4:7], v216 offset:832
	buffer_load_dword v15, off, s[52:55], 0 offset:468 ; 4-byte Folded Reload
	buffer_load_dword v16, off, s[52:55], 0 offset:472 ; 4-byte Folded Reload
	;; [unrolled: 1-line block ×4, first 2 shown]
	v_mov_b32_e32 v24, s5
	s_mul_hi_u32 s5, s8, 0xffffdc40
	s_sub_i32 s5, s5, s8
	s_waitcnt vmcnt(0) lgkmcnt(1)
	v_mul_f64 v[10:11], v[17:18], v[2:3]
	v_mad_u64_u32 v[12:13], s[0:1], s11, v148, v[9:10]
	v_mul_f64 v[13:14], v[17:18], v[0:1]
	v_fma_f64 v[0:1], v[15:16], v[0:1], v[10:11]
	buffer_load_dword v11, off, s[52:55], 0 ; 4-byte Folded Reload
	v_mov_b32_e32 v9, v12
	v_lshlrev_b64 v[8:9], 4, v[8:9]
	v_fma_f64 v[2:3], v[15:16], v[2:3], -v[13:14]
	s_waitcnt vmcnt(0)
	v_mad_u64_u32 v[18:19], s[0:1], s8, v11, 0
	s_mov_b32 s0, 0x1a41a41a
	s_mov_b32 s1, 0x3f4a41a4
	v_mov_b32_e32 v10, v19
	v_mad_u64_u32 v[14:15], s[2:3], s9, v11, v[10:11]
	ds_read_b128 v[10:13], v216 offset:9984
	v_mul_f64 v[0:1], v[0:1], s[0:1]
	v_mov_b32_e32 v19, v14
	ds_read_b128 v[14:17], v216 offset:10816
	buffer_load_dword v25, off, s[52:55], 0 offset:436 ; 4-byte Folded Reload
	buffer_load_dword v26, off, s[52:55], 0 offset:440 ; 4-byte Folded Reload
	;; [unrolled: 1-line block ×4, first 2 shown]
	v_mul_f64 v[2:3], v[2:3], s[0:1]
	s_mul_i32 s2, s9, 0x2700
	s_mul_hi_u32 s3, s8, 0x2700
	s_add_i32 s2, s3, s2
	s_mul_i32 s3, s8, 0x2700
	s_waitcnt vmcnt(0) lgkmcnt(1)
	v_mul_f64 v[20:21], v[27:28], v[12:13]
	v_mul_f64 v[22:23], v[27:28], v[10:11]
	v_add_co_u32_e32 v28, vcc, s4, v8
	v_addc_co_u32_e32 v29, vcc, v24, v9, vcc
	v_lshlrev_b64 v[8:9], 4, v[18:19]
	s_mul_i32 s4, s9, 0xffffdc40
	v_add_co_u32_e32 v8, vcc, v28, v8
	v_addc_co_u32_e32 v9, vcc, v29, v9, vcc
	global_store_dwordx4 v[8:9], v[0:3], off
	v_fma_f64 v[10:11], v[25:26], v[10:11], v[20:21]
	v_fma_f64 v[12:13], v[25:26], v[12:13], -v[22:23]
	buffer_load_dword v22, off, s[52:55], 0 offset:276 ; 4-byte Folded Reload
	buffer_load_dword v23, off, s[52:55], 0 offset:280 ; 4-byte Folded Reload
	;; [unrolled: 1-line block ×4, first 2 shown]
	s_add_i32 s5, s5, s4
	s_mul_i32 s4, s8, 0xffffdc40
	v_mul_f64 v[0:1], v[10:11], s[0:1]
	v_mul_f64 v[2:3], v[12:13], s[0:1]
	v_mov_b32_e32 v10, s2
	v_add_co_u32_e32 v12, vcc, s3, v8
	v_addc_co_u32_e32 v13, vcc, v9, v10, vcc
	global_store_dwordx4 v[12:13], v[0:3], off
	s_waitcnt vmcnt(1)
	v_mul_f64 v[18:19], v[24:25], v[6:7]
	v_mul_f64 v[20:21], v[24:25], v[4:5]
	v_fma_f64 v[4:5], v[22:23], v[4:5], v[18:19]
	v_fma_f64 v[6:7], v[22:23], v[6:7], -v[20:21]
	buffer_load_dword v18, off, s[52:55], 0 offset:260 ; 4-byte Folded Reload
	buffer_load_dword v19, off, s[52:55], 0 offset:264 ; 4-byte Folded Reload
	;; [unrolled: 1-line block ×4, first 2 shown]
	v_mov_b32_e32 v23, s5
	v_add_co_u32_e32 v22, vcc, s4, v12
	v_addc_co_u32_e32 v23, vcc, v13, v23, vcc
	v_mul_f64 v[0:1], v[4:5], s[0:1]
	v_mul_f64 v[2:3], v[6:7], s[0:1]
	ds_read_b128 v[4:7], v216 offset:1664
	s_waitcnt vmcnt(0) lgkmcnt(1)
	v_mul_f64 v[8:9], v[20:21], v[16:17]
	v_mul_f64 v[10:11], v[20:21], v[14:15]
	v_fma_f64 v[14:15], v[18:19], v[14:15], v[8:9]
	v_fma_f64 v[16:17], v[18:19], v[16:17], -v[10:11]
	ds_read_b128 v[8:11], v216 offset:2496
	buffer_load_dword v24, off, s[52:55], 0 offset:340 ; 4-byte Folded Reload
	buffer_load_dword v25, off, s[52:55], 0 offset:344 ; 4-byte Folded Reload
	;; [unrolled: 1-line block ×4, first 2 shown]
	s_waitcnt vmcnt(0) lgkmcnt(1)
	v_mul_f64 v[18:19], v[26:27], v[6:7]
	v_mul_f64 v[20:21], v[26:27], v[4:5]
	global_store_dwordx4 v[22:23], v[0:3], off
	v_mov_b32_e32 v26, s2
	v_mul_f64 v[0:1], v[14:15], s[0:1]
	v_mul_f64 v[2:3], v[16:17], s[0:1]
	ds_read_b128 v[12:15], v216 offset:11648
	v_add_co_u32_e32 v22, vcc, s3, v22
	v_fma_f64 v[16:17], v[24:25], v[4:5], v[18:19]
	v_fma_f64 v[18:19], v[24:25], v[6:7], -v[20:21]
	ds_read_b128 v[4:7], v216 offset:12480
	buffer_load_dword v30, off, s[52:55], 0 offset:180 ; 4-byte Folded Reload
	buffer_load_dword v31, off, s[52:55], 0 offset:184 ; 4-byte Folded Reload
	;; [unrolled: 1-line block ×4, first 2 shown]
	v_addc_co_u32_e32 v23, vcc, v23, v26, vcc
	global_store_dwordx4 v[22:23], v[0:3], off
	v_mov_b32_e32 v26, s5
	v_mul_f64 v[0:1], v[16:17], s[0:1]
	v_mul_f64 v[2:3], v[18:19], s[0:1]
	s_waitcnt vmcnt(1) lgkmcnt(1)
	v_mul_f64 v[20:21], v[32:33], v[14:15]
	v_mul_f64 v[24:25], v[32:33], v[12:13]
	v_fma_f64 v[12:13], v[30:31], v[12:13], v[20:21]
	v_fma_f64 v[14:15], v[30:31], v[14:15], -v[24:25]
	buffer_load_dword v30, off, s[52:55], 0 offset:212 ; 4-byte Folded Reload
	buffer_load_dword v31, off, s[52:55], 0 offset:216 ; 4-byte Folded Reload
	;; [unrolled: 1-line block ×4, first 2 shown]
	v_add_co_u32_e32 v20, vcc, s4, v22
	v_addc_co_u32_e32 v21, vcc, v23, v26, vcc
	global_store_dwordx4 v[20:21], v[0:3], off
	buffer_load_dword v23, off, s[52:55], 0 offset:452 ; 4-byte Folded Reload
	buffer_load_dword v24, off, s[52:55], 0 offset:456 ; 4-byte Folded Reload
	;; [unrolled: 1-line block ×4, first 2 shown]
	v_mul_f64 v[0:1], v[12:13], s[0:1]
	v_mul_f64 v[2:3], v[14:15], s[0:1]
	v_mov_b32_e32 v22, s2
	s_waitcnt vmcnt(5)
	v_mul_f64 v[16:17], v[32:33], v[10:11]
	v_mul_f64 v[18:19], v[32:33], v[8:9]
	s_waitcnt vmcnt(0) lgkmcnt(0)
	v_mul_f64 v[12:13], v[25:26], v[6:7]
	v_mul_f64 v[14:15], v[25:26], v[4:5]
	v_fma_f64 v[8:9], v[30:31], v[8:9], v[16:17]
	v_fma_f64 v[10:11], v[30:31], v[10:11], -v[18:19]
	v_add_co_u32_e32 v16, vcc, s3, v20
	v_addc_co_u32_e32 v17, vcc, v21, v22, vcc
	global_store_dwordx4 v[16:17], v[0:3], off
	v_fma_f64 v[12:13], v[23:24], v[4:5], v[12:13]
	v_mul_f64 v[0:1], v[8:9], s[0:1]
	v_mul_f64 v[2:3], v[10:11], s[0:1]
	v_fma_f64 v[14:15], v[23:24], v[6:7], -v[14:15]
	v_mov_b32_e32 v22, s5
	v_add_co_u32_e32 v16, vcc, s4, v16
	v_addc_co_u32_e32 v17, vcc, v17, v22, vcc
	ds_read_b128 v[8:11], v216 offset:3328
	ds_read_b128 v[4:7], v216 offset:4160
	buffer_load_dword v23, off, s[52:55], 0 offset:196 ; 4-byte Folded Reload
	buffer_load_dword v24, off, s[52:55], 0 offset:200 ; 4-byte Folded Reload
	;; [unrolled: 1-line block ×4, first 2 shown]
	s_waitcnt vmcnt(0) lgkmcnt(1)
	v_mul_f64 v[18:19], v[25:26], v[10:11]
	global_store_dwordx4 v[16:17], v[0:3], off
	v_add_co_u32_e32 v16, vcc, s3, v16
	v_mul_f64 v[0:1], v[12:13], s[0:1]
	v_mul_f64 v[2:3], v[14:15], s[0:1]
	v_mov_b32_e32 v12, s2
	v_addc_co_u32_e32 v17, vcc, v17, v12, vcc
	ds_read_b128 v[12:15], v216 offset:14144
	v_mul_f64 v[20:21], v[25:26], v[8:9]
	v_fma_f64 v[8:9], v[23:24], v[8:9], v[18:19]
	global_store_dwordx4 v[16:17], v[0:3], off
	ds_read_b128 v[0:3], v216 offset:13312
	buffer_load_dword v30, off, s[52:55], 0 offset:228 ; 4-byte Folded Reload
	buffer_load_dword v31, off, s[52:55], 0 offset:232 ; 4-byte Folded Reload
	;; [unrolled: 1-line block ×5, first 2 shown]
	v_add_co_u32_e32 v16, vcc, s4, v16
	v_fma_f64 v[10:11], v[23:24], v[10:11], -v[20:21]
	v_mul_f64 v[8:9], v[8:9], s[0:1]
	v_mov_b32_e32 v24, s5
	v_addc_co_u32_e32 v17, vcc, v17, v24, vcc
	v_mul_f64 v[10:11], v[10:11], s[0:1]
	s_waitcnt vmcnt(1) lgkmcnt(0)
	v_mul_f64 v[18:19], v[32:33], v[2:3]
	v_mul_f64 v[20:21], v[32:33], v[0:1]
	s_waitcnt vmcnt(0)
	v_mad_u64_u32 v[22:23], s[6:7], s8, v26, 0
	v_fma_f64 v[0:1], v[30:31], v[0:1], v[18:19]
	v_fma_f64 v[2:3], v[30:31], v[2:3], -v[20:21]
	buffer_load_dword v30, off, s[52:55], 0 offset:244 ; 4-byte Folded Reload
	buffer_load_dword v31, off, s[52:55], 0 offset:248 ; 4-byte Folded Reload
	;; [unrolled: 1-line block ×4, first 2 shown]
	v_mov_b32_e32 v18, v23
	global_store_dwordx4 v[16:17], v[8:11], off
	v_mul_f64 v[0:1], v[0:1], s[0:1]
	v_mul_f64 v[2:3], v[2:3], s[0:1]
	s_waitcnt vmcnt(1)
	v_mul_f64 v[19:20], v[32:33], v[6:7]
	v_mul_f64 v[24:25], v[32:33], v[4:5]
	v_mad_u64_u32 v[26:27], s[6:7], s9, v26, v[18:19]
	v_fma_f64 v[4:5], v[30:31], v[4:5], v[19:20]
	v_fma_f64 v[6:7], v[30:31], v[6:7], -v[24:25]
	v_mov_b32_e32 v23, v26
	v_lshlrev_b64 v[8:9], 4, v[22:23]
	v_mov_b32_e32 v26, s2
	v_add_co_u32_e32 v8, vcc, v28, v8
	v_addc_co_u32_e32 v9, vcc, v29, v9, vcc
	global_store_dwordx4 v[8:9], v[0:3], off
	buffer_load_dword v18, off, s[52:55], 0 offset:324 ; 4-byte Folded Reload
	buffer_load_dword v19, off, s[52:55], 0 offset:328 ; 4-byte Folded Reload
	;; [unrolled: 1-line block ×4, first 2 shown]
	v_mul_f64 v[0:1], v[4:5], s[0:1]
	v_mov_b32_e32 v4, 0x340
	v_mul_f64 v[2:3], v[6:7], s[0:1]
	v_mad_u64_u32 v[16:17], s[6:7], s8, v4, v[16:17]
	ds_read_b128 v[4:7], v216 offset:4992
	s_mul_i32 s6, s9, 0x340
	v_add_u32_e32 v17, s6, v17
	s_waitcnt vmcnt(0)
	v_mul_f64 v[8:9], v[20:21], v[14:15]
	v_mul_f64 v[10:11], v[20:21], v[12:13]
	v_fma_f64 v[12:13], v[18:19], v[12:13], v[8:9]
	v_fma_f64 v[14:15], v[18:19], v[14:15], -v[10:11]
	ds_read_b128 v[8:11], v216 offset:5824
	buffer_load_dword v22, off, s[52:55], 0 offset:548 ; 4-byte Folded Reload
	buffer_load_dword v23, off, s[52:55], 0 offset:552 ; 4-byte Folded Reload
	;; [unrolled: 1-line block ×4, first 2 shown]
	s_waitcnt vmcnt(0) lgkmcnt(1)
	v_mul_f64 v[18:19], v[24:25], v[6:7]
	v_mul_f64 v[20:21], v[24:25], v[4:5]
	global_store_dwordx4 v[16:17], v[0:3], off
	v_add_co_u32_e32 v16, vcc, s3, v16
	v_mul_f64 v[0:1], v[12:13], s[0:1]
	v_mul_f64 v[2:3], v[14:15], s[0:1]
	ds_read_b128 v[12:15], v216 offset:14976
	v_fma_f64 v[18:19], v[22:23], v[4:5], v[18:19]
	v_fma_f64 v[20:21], v[22:23], v[6:7], -v[20:21]
	ds_read_b128 v[4:7], v216 offset:15808
	buffer_load_dword v27, off, s[52:55], 0 offset:516 ; 4-byte Folded Reload
	buffer_load_dword v28, off, s[52:55], 0 offset:520 ; 4-byte Folded Reload
	;; [unrolled: 1-line block ×4, first 2 shown]
	v_addc_co_u32_e32 v17, vcc, v17, v26, vcc
	global_store_dwordx4 v[16:17], v[0:3], off
	v_mov_b32_e32 v26, s5
	v_mul_f64 v[0:1], v[18:19], s[0:1]
	v_mul_f64 v[2:3], v[20:21], s[0:1]
	v_add_co_u32_e32 v16, vcc, s4, v16
	v_addc_co_u32_e32 v17, vcc, v17, v26, vcc
	s_waitcnt vmcnt(1) lgkmcnt(1)
	v_mul_f64 v[22:23], v[29:30], v[14:15]
	v_mul_f64 v[24:25], v[29:30], v[12:13]
	v_fma_f64 v[12:13], v[27:28], v[12:13], v[22:23]
	v_fma_f64 v[14:15], v[27:28], v[14:15], -v[24:25]
	buffer_load_dword v27, off, s[52:55], 0 offset:404 ; 4-byte Folded Reload
	buffer_load_dword v28, off, s[52:55], 0 offset:408 ; 4-byte Folded Reload
	;; [unrolled: 1-line block ×4, first 2 shown]
	v_mov_b32_e32 v22, s2
	global_store_dwordx4 v[16:17], v[0:3], off
	v_add_co_u32_e32 v16, vcc, s3, v16
	v_addc_co_u32_e32 v17, vcc, v17, v22, vcc
	v_mul_f64 v[0:1], v[12:13], s[0:1]
	v_mul_f64 v[2:3], v[14:15], s[0:1]
	v_mov_b32_e32 v22, s5
	s_waitcnt vmcnt(1)
	v_mul_f64 v[18:19], v[29:30], v[10:11]
	v_mul_f64 v[20:21], v[29:30], v[8:9]
	v_fma_f64 v[8:9], v[27:28], v[8:9], v[18:19]
	v_fma_f64 v[10:11], v[27:28], v[10:11], -v[20:21]
	buffer_load_dword v18, off, s[52:55], 0 offset:388 ; 4-byte Folded Reload
	buffer_load_dword v19, off, s[52:55], 0 offset:392 ; 4-byte Folded Reload
	;; [unrolled: 1-line block ×4, first 2 shown]
	s_waitcnt vmcnt(0) lgkmcnt(0)
	v_mul_f64 v[12:13], v[20:21], v[6:7]
	v_mul_f64 v[14:15], v[20:21], v[4:5]
	global_store_dwordx4 v[16:17], v[0:3], off
	v_add_co_u32_e32 v16, vcc, s4, v16
	v_mul_f64 v[0:1], v[8:9], s[0:1]
	v_mul_f64 v[2:3], v[10:11], s[0:1]
	ds_read_b128 v[8:11], v216 offset:6656
	v_fma_f64 v[12:13], v[18:19], v[4:5], v[12:13]
	v_fma_f64 v[14:15], v[18:19], v[6:7], -v[14:15]
	ds_read_b128 v[4:7], v216 offset:7488
	buffer_load_dword v23, off, s[52:55], 0 offset:532 ; 4-byte Folded Reload
	buffer_load_dword v24, off, s[52:55], 0 offset:536 ; 4-byte Folded Reload
	;; [unrolled: 1-line block ×4, first 2 shown]
	v_addc_co_u32_e32 v17, vcc, v17, v22, vcc
	global_store_dwordx4 v[16:17], v[0:3], off
	v_add_co_u32_e32 v16, vcc, s3, v16
	v_mul_f64 v[0:1], v[12:13], s[0:1]
	v_mul_f64 v[2:3], v[14:15], s[0:1]
	ds_read_b128 v[12:15], v216 offset:16640
	s_waitcnt vmcnt(1) lgkmcnt(2)
	v_mul_f64 v[18:19], v[25:26], v[10:11]
	v_mul_f64 v[20:21], v[25:26], v[8:9]
	v_mov_b32_e32 v26, s2
	v_addc_co_u32_e32 v17, vcc, v17, v26, vcc
	v_mov_b32_e32 v26, s5
	v_fma_f64 v[18:19], v[23:24], v[8:9], v[18:19]
	v_fma_f64 v[20:21], v[23:24], v[10:11], -v[20:21]
	ds_read_b128 v[8:11], v216 offset:17472
	buffer_load_dword v27, off, s[52:55], 0 offset:500 ; 4-byte Folded Reload
	buffer_load_dword v28, off, s[52:55], 0 offset:504 ; 4-byte Folded Reload
	buffer_load_dword v29, off, s[52:55], 0 offset:508 ; 4-byte Folded Reload
	buffer_load_dword v30, off, s[52:55], 0 offset:512 ; 4-byte Folded Reload
	s_waitcnt vmcnt(0) lgkmcnt(1)
	v_mul_f64 v[22:23], v[29:30], v[14:15]
	v_mul_f64 v[24:25], v[29:30], v[12:13]
	global_store_dwordx4 v[16:17], v[0:3], off
	v_add_co_u32_e32 v16, vcc, s4, v16
	v_mul_f64 v[0:1], v[18:19], s[0:1]
	v_mul_f64 v[2:3], v[20:21], s[0:1]
	v_addc_co_u32_e32 v17, vcc, v17, v26, vcc
	v_fma_f64 v[12:13], v[27:28], v[12:13], v[22:23]
	v_fma_f64 v[14:15], v[27:28], v[14:15], -v[24:25]
	buffer_load_dword v27, off, s[52:55], 0 offset:372 ; 4-byte Folded Reload
	buffer_load_dword v28, off, s[52:55], 0 offset:376 ; 4-byte Folded Reload
	;; [unrolled: 1-line block ×4, first 2 shown]
	v_mov_b32_e32 v22, s2
	global_store_dwordx4 v[16:17], v[0:3], off
	v_add_co_u32_e32 v16, vcc, s3, v16
	v_mul_f64 v[0:1], v[12:13], s[0:1]
	v_mul_f64 v[2:3], v[14:15], s[0:1]
	v_addc_co_u32_e32 v17, vcc, v17, v22, vcc
	v_mov_b32_e32 v22, s5
	s_waitcnt vmcnt(1)
	v_mul_f64 v[18:19], v[29:30], v[6:7]
	v_mul_f64 v[20:21], v[29:30], v[4:5]
	v_fma_f64 v[4:5], v[27:28], v[4:5], v[18:19]
	v_fma_f64 v[6:7], v[27:28], v[6:7], -v[20:21]
	buffer_load_dword v18, off, s[52:55], 0 offset:356 ; 4-byte Folded Reload
	buffer_load_dword v19, off, s[52:55], 0 offset:360 ; 4-byte Folded Reload
	;; [unrolled: 1-line block ×4, first 2 shown]
	s_waitcnt vmcnt(0) lgkmcnt(0)
	v_mul_f64 v[12:13], v[20:21], v[10:11]
	v_mul_f64 v[14:15], v[20:21], v[8:9]
	global_store_dwordx4 v[16:17], v[0:3], off
	v_add_co_u32_e32 v16, vcc, s4, v16
	v_mul_f64 v[0:1], v[4:5], s[0:1]
	v_mul_f64 v[2:3], v[6:7], s[0:1]
	ds_read_b128 v[4:7], v216 offset:8320
	v_fma_f64 v[12:13], v[18:19], v[8:9], v[12:13]
	v_fma_f64 v[14:15], v[18:19], v[10:11], -v[14:15]
	ds_read_b128 v[8:11], v216 offset:9152
	buffer_load_dword v23, off, s[52:55], 0 offset:484 ; 4-byte Folded Reload
	buffer_load_dword v24, off, s[52:55], 0 offset:488 ; 4-byte Folded Reload
	buffer_load_dword v25, off, s[52:55], 0 offset:492 ; 4-byte Folded Reload
	buffer_load_dword v26, off, s[52:55], 0 offset:496 ; 4-byte Folded Reload
	v_addc_co_u32_e32 v17, vcc, v17, v22, vcc
	global_store_dwordx4 v[16:17], v[0:3], off
	v_add_co_u32_e32 v16, vcc, s3, v16
	v_mul_f64 v[0:1], v[12:13], s[0:1]
	v_mul_f64 v[2:3], v[14:15], s[0:1]
	ds_read_b128 v[12:15], v216 offset:18304
	s_waitcnt vmcnt(1) lgkmcnt(2)
	v_mul_f64 v[18:19], v[25:26], v[6:7]
	v_mul_f64 v[20:21], v[25:26], v[4:5]
	v_mov_b32_e32 v26, s2
	v_addc_co_u32_e32 v17, vcc, v17, v26, vcc
	v_fma_f64 v[18:19], v[23:24], v[4:5], v[18:19]
	v_fma_f64 v[20:21], v[23:24], v[6:7], -v[20:21]
	ds_read_b128 v[4:7], v216 offset:19136
	buffer_load_dword v27, off, s[52:55], 0 offset:292 ; 4-byte Folded Reload
	buffer_load_dword v28, off, s[52:55], 0 offset:296 ; 4-byte Folded Reload
	;; [unrolled: 1-line block ×4, first 2 shown]
	s_waitcnt vmcnt(0) lgkmcnt(1)
	v_mul_f64 v[22:23], v[29:30], v[14:15]
	v_mul_f64 v[24:25], v[29:30], v[12:13]
	global_store_dwordx4 v[16:17], v[0:3], off
	v_add_co_u32_e32 v16, vcc, s4, v16
	v_mul_f64 v[0:1], v[18:19], s[0:1]
	v_mov_b32_e32 v18, s5
	v_mul_f64 v[2:3], v[20:21], s[0:1]
	v_fma_f64 v[12:13], v[27:28], v[12:13], v[22:23]
	v_fma_f64 v[14:15], v[27:28], v[14:15], -v[24:25]
	buffer_load_dword v26, off, s[52:55], 0 offset:308 ; 4-byte Folded Reload
	buffer_load_dword v27, off, s[52:55], 0 offset:312 ; 4-byte Folded Reload
	;; [unrolled: 1-line block ×4, first 2 shown]
	v_addc_co_u32_e32 v17, vcc, v17, v18, vcc
	s_waitcnt vmcnt(0)
	v_mul_f64 v[18:19], v[28:29], v[10:11]
	v_mul_f64 v[20:21], v[28:29], v[8:9]
	buffer_load_dword v28, off, s[52:55], 0 offset:420 ; 4-byte Folded Reload
	buffer_load_dword v29, off, s[52:55], 0 offset:424 ; 4-byte Folded Reload
	;; [unrolled: 1-line block ×4, first 2 shown]
	v_fma_f64 v[8:9], v[26:27], v[8:9], v[18:19]
	global_store_dwordx4 v[16:17], v[0:3], off
	v_fma_f64 v[10:11], v[26:27], v[10:11], -v[20:21]
	v_mul_f64 v[0:1], v[12:13], s[0:1]
	v_mul_f64 v[2:3], v[14:15], s[0:1]
	v_mov_b32_e32 v13, s2
	v_add_co_u32_e32 v12, vcc, s3, v16
	v_addc_co_u32_e32 v13, vcc, v17, v13, vcc
	global_store_dwordx4 v[12:13], v[0:3], off
	s_nop 0
	v_mul_f64 v[0:1], v[8:9], s[0:1]
	v_mul_f64 v[2:3], v[10:11], s[0:1]
	v_mov_b32_e32 v9, s5
	v_add_co_u32_e32 v8, vcc, s4, v12
	v_addc_co_u32_e32 v9, vcc, v13, v9, vcc
	global_store_dwordx4 v[8:9], v[0:3], off
	s_nop 0
	v_mov_b32_e32 v1, s2
	v_add_co_u32_e32 v0, vcc, s3, v8
	v_addc_co_u32_e32 v1, vcc, v9, v1, vcc
	s_waitcnt vmcnt(3) lgkmcnt(0)
	v_mul_f64 v[22:23], v[30:31], v[6:7]
	v_mul_f64 v[24:25], v[30:31], v[4:5]
	v_fma_f64 v[4:5], v[28:29], v[4:5], v[22:23]
	v_fma_f64 v[6:7], v[28:29], v[6:7], -v[24:25]
	v_mul_f64 v[4:5], v[4:5], s[0:1]
	v_mul_f64 v[6:7], v[6:7], s[0:1]
	global_store_dwordx4 v[0:1], v[4:7], off
.LBB0_10:
	s_endpgm
	.section	.rodata,"a",@progbits
	.p2align	6, 0x0
	.amdhsa_kernel bluestein_single_back_len1248_dim1_dp_op_CI_CI
		.amdhsa_group_segment_fixed_size 19968
		.amdhsa_private_segment_fixed_size 1164
		.amdhsa_kernarg_size 104
		.amdhsa_user_sgpr_count 6
		.amdhsa_user_sgpr_private_segment_buffer 1
		.amdhsa_user_sgpr_dispatch_ptr 0
		.amdhsa_user_sgpr_queue_ptr 0
		.amdhsa_user_sgpr_kernarg_segment_ptr 1
		.amdhsa_user_sgpr_dispatch_id 0
		.amdhsa_user_sgpr_flat_scratch_init 0
		.amdhsa_user_sgpr_private_segment_size 0
		.amdhsa_uses_dynamic_stack 0
		.amdhsa_system_sgpr_private_segment_wavefront_offset 1
		.amdhsa_system_sgpr_workgroup_id_x 1
		.amdhsa_system_sgpr_workgroup_id_y 0
		.amdhsa_system_sgpr_workgroup_id_z 0
		.amdhsa_system_sgpr_workgroup_info 0
		.amdhsa_system_vgpr_workitem_id 0
		.amdhsa_next_free_vgpr 256
		.amdhsa_next_free_sgpr 56
		.amdhsa_reserve_vcc 1
		.amdhsa_reserve_flat_scratch 0
		.amdhsa_float_round_mode_32 0
		.amdhsa_float_round_mode_16_64 0
		.amdhsa_float_denorm_mode_32 3
		.amdhsa_float_denorm_mode_16_64 3
		.amdhsa_dx10_clamp 1
		.amdhsa_ieee_mode 1
		.amdhsa_fp16_overflow 0
		.amdhsa_exception_fp_ieee_invalid_op 0
		.amdhsa_exception_fp_denorm_src 0
		.amdhsa_exception_fp_ieee_div_zero 0
		.amdhsa_exception_fp_ieee_overflow 0
		.amdhsa_exception_fp_ieee_underflow 0
		.amdhsa_exception_fp_ieee_inexact 0
		.amdhsa_exception_int_div_zero 0
	.end_amdhsa_kernel
	.text
.Lfunc_end0:
	.size	bluestein_single_back_len1248_dim1_dp_op_CI_CI, .Lfunc_end0-bluestein_single_back_len1248_dim1_dp_op_CI_CI
                                        ; -- End function
	.section	.AMDGPU.csdata,"",@progbits
; Kernel info:
; codeLenInByte = 44944
; NumSgprs: 60
; NumVgprs: 256
; ScratchSize: 1164
; MemoryBound: 0
; FloatMode: 240
; IeeeMode: 1
; LDSByteSize: 19968 bytes/workgroup (compile time only)
; SGPRBlocks: 7
; VGPRBlocks: 63
; NumSGPRsForWavesPerEU: 60
; NumVGPRsForWavesPerEU: 256
; Occupancy: 1
; WaveLimiterHint : 1
; COMPUTE_PGM_RSRC2:SCRATCH_EN: 1
; COMPUTE_PGM_RSRC2:USER_SGPR: 6
; COMPUTE_PGM_RSRC2:TRAP_HANDLER: 0
; COMPUTE_PGM_RSRC2:TGID_X_EN: 1
; COMPUTE_PGM_RSRC2:TGID_Y_EN: 0
; COMPUTE_PGM_RSRC2:TGID_Z_EN: 0
; COMPUTE_PGM_RSRC2:TIDIG_COMP_CNT: 0
	.type	__hip_cuid_f04c3ffb00a8b8a,@object ; @__hip_cuid_f04c3ffb00a8b8a
	.section	.bss,"aw",@nobits
	.globl	__hip_cuid_f04c3ffb00a8b8a
__hip_cuid_f04c3ffb00a8b8a:
	.byte	0                               ; 0x0
	.size	__hip_cuid_f04c3ffb00a8b8a, 1

	.ident	"AMD clang version 19.0.0git (https://github.com/RadeonOpenCompute/llvm-project roc-6.4.0 25133 c7fe45cf4b819c5991fe208aaa96edf142730f1d)"
	.section	".note.GNU-stack","",@progbits
	.addrsig
	.addrsig_sym __hip_cuid_f04c3ffb00a8b8a
	.amdgpu_metadata
---
amdhsa.kernels:
  - .args:
      - .actual_access:  read_only
        .address_space:  global
        .offset:         0
        .size:           8
        .value_kind:     global_buffer
      - .actual_access:  read_only
        .address_space:  global
        .offset:         8
        .size:           8
        .value_kind:     global_buffer
      - .actual_access:  read_only
        .address_space:  global
        .offset:         16
        .size:           8
        .value_kind:     global_buffer
      - .actual_access:  read_only
        .address_space:  global
        .offset:         24
        .size:           8
        .value_kind:     global_buffer
      - .actual_access:  read_only
        .address_space:  global
        .offset:         32
        .size:           8
        .value_kind:     global_buffer
      - .offset:         40
        .size:           8
        .value_kind:     by_value
      - .address_space:  global
        .offset:         48
        .size:           8
        .value_kind:     global_buffer
      - .address_space:  global
        .offset:         56
        .size:           8
        .value_kind:     global_buffer
      - .address_space:  global
        .offset:         64
        .size:           8
        .value_kind:     global_buffer
      - .address_space:  global
        .offset:         72
        .size:           8
        .value_kind:     global_buffer
      - .offset:         80
        .size:           4
        .value_kind:     by_value
      - .address_space:  global
        .offset:         88
        .size:           8
        .value_kind:     global_buffer
      - .address_space:  global
        .offset:         96
        .size:           8
        .value_kind:     global_buffer
    .group_segment_fixed_size: 19968
    .kernarg_segment_align: 8
    .kernarg_segment_size: 104
    .language:       OpenCL C
    .language_version:
      - 2
      - 0
    .max_flat_workgroup_size: 52
    .name:           bluestein_single_back_len1248_dim1_dp_op_CI_CI
    .private_segment_fixed_size: 1164
    .sgpr_count:     60
    .sgpr_spill_count: 0
    .symbol:         bluestein_single_back_len1248_dim1_dp_op_CI_CI.kd
    .uniform_work_group_size: 1
    .uses_dynamic_stack: false
    .vgpr_count:     256
    .vgpr_spill_count: 334
    .wavefront_size: 64
amdhsa.target:   amdgcn-amd-amdhsa--gfx906
amdhsa.version:
  - 1
  - 2
...

	.end_amdgpu_metadata
